;; amdgpu-corpus repo=ROCm/rocFFT kind=compiled arch=gfx1030 opt=O3
	.text
	.amdgcn_target "amdgcn-amd-amdhsa--gfx1030"
	.amdhsa_code_object_version 6
	.protected	fft_rtc_fwd_len4000_factors_10_10_10_4_wgs_200_tpt_200_halfLds_half_ip_CI_unitstride_sbrr_dirReg ; -- Begin function fft_rtc_fwd_len4000_factors_10_10_10_4_wgs_200_tpt_200_halfLds_half_ip_CI_unitstride_sbrr_dirReg
	.globl	fft_rtc_fwd_len4000_factors_10_10_10_4_wgs_200_tpt_200_halfLds_half_ip_CI_unitstride_sbrr_dirReg
	.p2align	8
	.type	fft_rtc_fwd_len4000_factors_10_10_10_4_wgs_200_tpt_200_halfLds_half_ip_CI_unitstride_sbrr_dirReg,@function
fft_rtc_fwd_len4000_factors_10_10_10_4_wgs_200_tpt_200_halfLds_half_ip_CI_unitstride_sbrr_dirReg: ; @fft_rtc_fwd_len4000_factors_10_10_10_4_wgs_200_tpt_200_halfLds_half_ip_CI_unitstride_sbrr_dirReg
; %bb.0:
	s_clause 0x2
	s_load_dwordx4 s[8:11], s[4:5], 0x0
	s_load_dwordx2 s[2:3], s[4:5], 0x50
	s_load_dwordx2 s[12:13], s[4:5], 0x18
	v_mul_u32_u24_e32 v1, 0x148, v0
	v_mov_b32_e32 v3, 0
	v_add_nc_u32_sdwa v5, s6, v1 dst_sel:DWORD dst_unused:UNUSED_PAD src0_sel:DWORD src1_sel:WORD_1
	v_mov_b32_e32 v1, 0
	v_mov_b32_e32 v6, v3
	v_mov_b32_e32 v2, 0
	s_waitcnt lgkmcnt(0)
	v_cmp_lt_u64_e64 s0, s[10:11], 2
	s_and_b32 vcc_lo, exec_lo, s0
	s_cbranch_vccnz .LBB0_8
; %bb.1:
	s_load_dwordx2 s[0:1], s[4:5], 0x10
	v_mov_b32_e32 v1, 0
	s_add_u32 s6, s12, 8
	v_mov_b32_e32 v2, 0
	s_addc_u32 s7, s13, 0
	s_mov_b64 s[16:17], 1
	s_waitcnt lgkmcnt(0)
	s_add_u32 s14, s0, 8
	s_addc_u32 s15, s1, 0
.LBB0_2:                                ; =>This Inner Loop Header: Depth=1
	s_load_dwordx2 s[18:19], s[14:15], 0x0
                                        ; implicit-def: $vgpr7_vgpr8
	s_mov_b32 s0, exec_lo
	s_waitcnt lgkmcnt(0)
	v_or_b32_e32 v4, s19, v6
	v_cmpx_ne_u64_e32 0, v[3:4]
	s_xor_b32 s1, exec_lo, s0
	s_cbranch_execz .LBB0_4
; %bb.3:                                ;   in Loop: Header=BB0_2 Depth=1
	v_cvt_f32_u32_e32 v4, s18
	v_cvt_f32_u32_e32 v7, s19
	s_sub_u32 s0, 0, s18
	s_subb_u32 s20, 0, s19
	v_fmac_f32_e32 v4, 0x4f800000, v7
	v_rcp_f32_e32 v4, v4
	v_mul_f32_e32 v4, 0x5f7ffffc, v4
	v_mul_f32_e32 v7, 0x2f800000, v4
	v_trunc_f32_e32 v7, v7
	v_fmac_f32_e32 v4, 0xcf800000, v7
	v_cvt_u32_f32_e32 v7, v7
	v_cvt_u32_f32_e32 v4, v4
	v_mul_lo_u32 v8, s0, v7
	v_mul_hi_u32 v9, s0, v4
	v_mul_lo_u32 v10, s20, v4
	v_add_nc_u32_e32 v8, v9, v8
	v_mul_lo_u32 v9, s0, v4
	v_add_nc_u32_e32 v8, v8, v10
	v_mul_hi_u32 v10, v4, v9
	v_mul_lo_u32 v11, v4, v8
	v_mul_hi_u32 v12, v4, v8
	v_mul_hi_u32 v13, v7, v9
	v_mul_lo_u32 v9, v7, v9
	v_mul_hi_u32 v14, v7, v8
	v_mul_lo_u32 v8, v7, v8
	v_add_co_u32 v10, vcc_lo, v10, v11
	v_add_co_ci_u32_e32 v11, vcc_lo, 0, v12, vcc_lo
	v_add_co_u32 v9, vcc_lo, v10, v9
	v_add_co_ci_u32_e32 v9, vcc_lo, v11, v13, vcc_lo
	v_add_co_ci_u32_e32 v10, vcc_lo, 0, v14, vcc_lo
	v_add_co_u32 v8, vcc_lo, v9, v8
	v_add_co_ci_u32_e32 v9, vcc_lo, 0, v10, vcc_lo
	v_add_co_u32 v4, vcc_lo, v4, v8
	v_add_co_ci_u32_e32 v7, vcc_lo, v7, v9, vcc_lo
	v_mul_hi_u32 v8, s0, v4
	v_mul_lo_u32 v10, s20, v4
	v_mul_lo_u32 v9, s0, v7
	v_add_nc_u32_e32 v8, v8, v9
	v_mul_lo_u32 v9, s0, v4
	v_add_nc_u32_e32 v8, v8, v10
	v_mul_hi_u32 v10, v4, v9
	v_mul_lo_u32 v11, v4, v8
	v_mul_hi_u32 v12, v4, v8
	v_mul_hi_u32 v13, v7, v9
	v_mul_lo_u32 v9, v7, v9
	v_mul_hi_u32 v14, v7, v8
	v_mul_lo_u32 v8, v7, v8
	v_add_co_u32 v10, vcc_lo, v10, v11
	v_add_co_ci_u32_e32 v11, vcc_lo, 0, v12, vcc_lo
	v_add_co_u32 v9, vcc_lo, v10, v9
	v_add_co_ci_u32_e32 v9, vcc_lo, v11, v13, vcc_lo
	v_add_co_ci_u32_e32 v10, vcc_lo, 0, v14, vcc_lo
	v_add_co_u32 v8, vcc_lo, v9, v8
	v_add_co_ci_u32_e32 v9, vcc_lo, 0, v10, vcc_lo
	v_add_co_u32 v4, vcc_lo, v4, v8
	v_add_co_ci_u32_e32 v11, vcc_lo, v7, v9, vcc_lo
	v_mul_hi_u32 v13, v5, v4
	v_mad_u64_u32 v[9:10], null, v6, v4, 0
	v_mad_u64_u32 v[7:8], null, v5, v11, 0
	;; [unrolled: 1-line block ×3, first 2 shown]
	v_add_co_u32 v4, vcc_lo, v13, v7
	v_add_co_ci_u32_e32 v7, vcc_lo, 0, v8, vcc_lo
	v_add_co_u32 v4, vcc_lo, v4, v9
	v_add_co_ci_u32_e32 v4, vcc_lo, v7, v10, vcc_lo
	v_add_co_ci_u32_e32 v7, vcc_lo, 0, v12, vcc_lo
	v_add_co_u32 v4, vcc_lo, v4, v11
	v_add_co_ci_u32_e32 v9, vcc_lo, 0, v7, vcc_lo
	v_mul_lo_u32 v10, s19, v4
	v_mad_u64_u32 v[7:8], null, s18, v4, 0
	v_mul_lo_u32 v11, s18, v9
	v_sub_co_u32 v7, vcc_lo, v5, v7
	v_add3_u32 v8, v8, v11, v10
	v_sub_nc_u32_e32 v10, v6, v8
	v_subrev_co_ci_u32_e64 v10, s0, s19, v10, vcc_lo
	v_add_co_u32 v11, s0, v4, 2
	v_add_co_ci_u32_e64 v12, s0, 0, v9, s0
	v_sub_co_u32 v13, s0, v7, s18
	v_sub_co_ci_u32_e32 v8, vcc_lo, v6, v8, vcc_lo
	v_subrev_co_ci_u32_e64 v10, s0, 0, v10, s0
	v_cmp_le_u32_e32 vcc_lo, s18, v13
	v_cmp_eq_u32_e64 s0, s19, v8
	v_cndmask_b32_e64 v13, 0, -1, vcc_lo
	v_cmp_le_u32_e32 vcc_lo, s19, v10
	v_cndmask_b32_e64 v14, 0, -1, vcc_lo
	v_cmp_le_u32_e32 vcc_lo, s18, v7
	;; [unrolled: 2-line block ×3, first 2 shown]
	v_cndmask_b32_e64 v15, 0, -1, vcc_lo
	v_cmp_eq_u32_e32 vcc_lo, s19, v10
	v_cndmask_b32_e64 v7, v15, v7, s0
	v_cndmask_b32_e32 v10, v14, v13, vcc_lo
	v_add_co_u32 v13, vcc_lo, v4, 1
	v_add_co_ci_u32_e32 v14, vcc_lo, 0, v9, vcc_lo
	v_cmp_ne_u32_e32 vcc_lo, 0, v10
	v_cndmask_b32_e32 v8, v14, v12, vcc_lo
	v_cndmask_b32_e32 v10, v13, v11, vcc_lo
	v_cmp_ne_u32_e32 vcc_lo, 0, v7
	v_cndmask_b32_e32 v8, v9, v8, vcc_lo
	v_cndmask_b32_e32 v7, v4, v10, vcc_lo
.LBB0_4:                                ;   in Loop: Header=BB0_2 Depth=1
	s_andn2_saveexec_b32 s0, s1
	s_cbranch_execz .LBB0_6
; %bb.5:                                ;   in Loop: Header=BB0_2 Depth=1
	v_cvt_f32_u32_e32 v4, s18
	s_sub_i32 s1, 0, s18
	v_rcp_iflag_f32_e32 v4, v4
	v_mul_f32_e32 v4, 0x4f7ffffe, v4
	v_cvt_u32_f32_e32 v4, v4
	v_mul_lo_u32 v7, s1, v4
	v_mul_hi_u32 v7, v4, v7
	v_add_nc_u32_e32 v4, v4, v7
	v_mul_hi_u32 v4, v5, v4
	v_mul_lo_u32 v7, v4, s18
	v_add_nc_u32_e32 v8, 1, v4
	v_sub_nc_u32_e32 v7, v5, v7
	v_subrev_nc_u32_e32 v9, s18, v7
	v_cmp_le_u32_e32 vcc_lo, s18, v7
	v_cndmask_b32_e32 v7, v7, v9, vcc_lo
	v_cndmask_b32_e32 v4, v4, v8, vcc_lo
	v_cmp_le_u32_e32 vcc_lo, s18, v7
	v_add_nc_u32_e32 v8, 1, v4
	v_cndmask_b32_e32 v7, v4, v8, vcc_lo
	v_mov_b32_e32 v8, v3
.LBB0_6:                                ;   in Loop: Header=BB0_2 Depth=1
	s_or_b32 exec_lo, exec_lo, s0
	s_load_dwordx2 s[0:1], s[6:7], 0x0
	v_mul_lo_u32 v4, v8, s18
	v_mul_lo_u32 v11, v7, s19
	v_mad_u64_u32 v[9:10], null, v7, s18, 0
	s_add_u32 s16, s16, 1
	s_addc_u32 s17, s17, 0
	s_add_u32 s6, s6, 8
	s_addc_u32 s7, s7, 0
	;; [unrolled: 2-line block ×3, first 2 shown]
	v_add3_u32 v4, v10, v11, v4
	v_sub_co_u32 v5, vcc_lo, v5, v9
	v_sub_co_ci_u32_e32 v4, vcc_lo, v6, v4, vcc_lo
	s_waitcnt lgkmcnt(0)
	v_mul_lo_u32 v6, s1, v5
	v_mul_lo_u32 v4, s0, v4
	v_mad_u64_u32 v[1:2], null, s0, v5, v[1:2]
	v_cmp_ge_u64_e64 s0, s[16:17], s[10:11]
	s_and_b32 vcc_lo, exec_lo, s0
	v_add3_u32 v2, v6, v2, v4
	s_cbranch_vccnz .LBB0_9
; %bb.7:                                ;   in Loop: Header=BB0_2 Depth=1
	v_mov_b32_e32 v5, v7
	v_mov_b32_e32 v6, v8
	s_branch .LBB0_2
.LBB0_8:
	v_mov_b32_e32 v8, v6
	v_mov_b32_e32 v7, v5
.LBB0_9:
	s_lshl_b64 s[0:1], s[10:11], 3
	v_mul_hi_u32 v5, 0x147ae15, v0
	s_add_u32 s0, s12, s0
	s_addc_u32 s1, s13, s1
                                        ; implicit-def: $vgpr6
                                        ; implicit-def: $vgpr28
                                        ; implicit-def: $vgpr25
                                        ; implicit-def: $vgpr30
                                        ; implicit-def: $vgpr29
                                        ; implicit-def: $vgpr31
                                        ; implicit-def: $vgpr26
                                        ; implicit-def: $vgpr32
                                        ; implicit-def: $vgpr27
                                        ; implicit-def: $vgpr14
                                        ; implicit-def: $vgpr15
                                        ; implicit-def: $vgpr16
                                        ; implicit-def: $vgpr13
                                        ; implicit-def: $vgpr17
                                        ; implicit-def: $vgpr19
                                        ; implicit-def: $vgpr18
                                        ; implicit-def: $vgpr20
                                        ; implicit-def: $vgpr21
                                        ; implicit-def: $vgpr24
                                        ; implicit-def: $vgpr23
                                        ; implicit-def: $vgpr22
                                        ; implicit-def: $vgpr10
                                        ; implicit-def: $vgpr9
                                        ; implicit-def: $vgpr12
                                        ; implicit-def: $vgpr11
	s_load_dwordx2 s[0:1], s[0:1], 0x0
	s_load_dwordx2 s[4:5], s[4:5], 0x20
	s_waitcnt lgkmcnt(0)
	v_mul_lo_u32 v3, s0, v8
	v_mul_lo_u32 v4, s1, v7
	v_mad_u64_u32 v[1:2], null, s0, v7, v[1:2]
	v_cmp_gt_u64_e32 vcc_lo, s[4:5], v[7:8]
                                        ; implicit-def: $vgpr8
                                        ; implicit-def: $vgpr7
	v_add3_u32 v2, v4, v2, v3
	v_mul_u32_u24_e32 v4, 0xc8, v5
                                        ; implicit-def: $vgpr5
	v_lshlrev_b64 v[2:3], 2, v[1:2]
	v_sub_nc_u32_e32 v0, v0, v4
                                        ; implicit-def: $vgpr1
                                        ; implicit-def: $vgpr4
	s_and_saveexec_b32 s1, vcc_lo
	s_cbranch_execz .LBB0_11
; %bb.10:
	v_mov_b32_e32 v1, 0
	v_lshlrev_b64 v[4:5], 2, v[0:1]
	v_add_co_u32 v1, s0, s2, v2
	v_add_co_ci_u32_e64 v6, s0, s3, v3, s0
	v_add_co_u32 v4, s0, v1, v4
	v_add_co_ci_u32_e64 v5, s0, v6, v5, s0
	;; [unrolled: 2-line block ×7, first 2 shown]
	s_clause 0x3
	global_load_dword v1, v[4:5], off
	global_load_dword v25, v[6:7], off offset:1152
	global_load_dword v26, v[10:11], off offset:1408
	;; [unrolled: 1-line block ×3, first 2 shown]
	v_add_co_u32 v30, s0, 0x2800, v4
	v_add_co_ci_u32_e64 v31, s0, 0, v5, s0
	v_add_co_u32 v32, s0, 0x3800, v4
	global_load_dword v21, v[8:9], off offset:1856
	v_add_co_ci_u32_e64 v33, s0, 0, v5, s0
	s_clause 0xe
	global_load_dword v13, v[8:9], off offset:1056
	global_load_dword v29, v[8:9], off offset:256
	;; [unrolled: 1-line block ×15, first 2 shown]
	s_waitcnt vmcnt(14)
	v_lshrrev_b32_e32 v16, 16, v13
	s_waitcnt vmcnt(13)
	v_lshrrev_b32_e32 v30, 16, v29
	v_lshrrev_b32_e32 v6, 16, v1
	;; [unrolled: 1-line block ×5, first 2 shown]
	s_waitcnt vmcnt(9)
	v_lshrrev_b32_e32 v5, 16, v4
	v_lshrrev_b32_e32 v14, 16, v15
	s_waitcnt vmcnt(8)
	v_lshrrev_b32_e32 v17, 16, v19
	s_waitcnt vmcnt(5)
	v_lshrrev_b32_e32 v18, 16, v20
.LBB0_11:
	s_or_b32 exec_lo, exec_lo, s1
	v_add_f16_e32 v33, v29, v26
	v_sub_f16_e32 v35, v28, v32
	v_add_f16_e32 v34, v1, v25
	v_sub_f16_e32 v36, v30, v31
	v_sub_f16_e32 v37, v25, v29
	v_fma_f16 v33, -0.5, v33, v1
	v_sub_f16_e32 v38, v27, v26
	v_add_f16_e32 v39, v25, v27
	v_add_f16_e32 v34, v34, v29
	v_sub_f16_e32 v40, v29, v25
	v_fmamk_f16 v41, v35, 0x3b9c, v33
	v_fmac_f16_e32 v33, 0xbb9c, v35
	v_add_f16_e32 v37, v37, v38
	v_fmac_f16_e32 v1, -0.5, v39
	v_sub_f16_e32 v38, v26, v27
	v_fmac_f16_e32 v41, 0x38b4, v36
	v_fmac_f16_e32 v33, 0xb8b4, v36
	v_add_f16_e32 v42, v30, v31
	v_add_f16_e32 v34, v34, v26
	v_fmamk_f16 v39, v36, 0xbb9c, v1
	v_fmac_f16_e32 v41, 0x34f2, v37
	v_add_f16_e32 v38, v40, v38
	v_fmac_f16_e32 v1, 0x3b9c, v36
	v_add_f16_e32 v36, v6, v28
	v_fma_f16 v40, -0.5, v42, v6
	v_sub_f16_e32 v25, v25, v27
	v_fmac_f16_e32 v33, 0x34f2, v37
	v_add_f16_e32 v37, v28, v32
	v_add_f16_e32 v34, v34, v27
	v_fmac_f16_e32 v39, 0x38b4, v35
	v_fmac_f16_e32 v1, 0xb8b4, v35
	v_add_f16_e32 v27, v36, v30
	v_fmamk_f16 v35, v25, 0xbb9c, v40
	v_sub_f16_e32 v26, v29, v26
	v_sub_f16_e32 v29, v28, v30
	;; [unrolled: 1-line block ×3, first 2 shown]
	v_fmac_f16_e32 v40, 0x3b9c, v25
	v_fmac_f16_e32 v6, -0.5, v37
	v_add_f16_e32 v27, v27, v31
	v_fmac_f16_e32 v35, 0xb8b4, v26
	v_add_f16_e32 v29, v29, v36
	v_sub_f16_e32 v28, v30, v28
	v_sub_f16_e32 v30, v31, v32
	v_fmac_f16_e32 v40, 0x38b4, v26
	v_fmamk_f16 v31, v26, 0x3b9c, v6
	v_fmac_f16_e32 v6, 0xbb9c, v26
	v_fmac_f16_e32 v35, 0x34f2, v29
	v_add_f16_e32 v27, v27, v32
	v_fmac_f16_e32 v40, 0x34f2, v29
	v_fmac_f16_e32 v31, 0xb8b4, v25
	;; [unrolled: 1-line block ×3, first 2 shown]
	v_pk_add_f16 v25, v24, v21 neg_lo:[0,1] neg_hi:[0,1]
	s_waitcnt vmcnt(1)
	v_pk_add_f16 v29, v22, v23 neg_lo:[0,1] neg_hi:[0,1]
	v_add_f16_e32 v28, v28, v30
	v_add_f16_e32 v30, v21, v23
	v_pk_add_f16 v32, v24, v22 neg_lo:[0,1] neg_hi:[0,1]
	v_pk_add_f16 v36, v21, v23 neg_lo:[0,1] neg_hi:[0,1]
	v_pk_add_f16 v25, v25, v29
	v_lshrrev_b32_e32 v29, 16, v8
	v_add_f16_sdwa v37, v21, v23 dst_sel:DWORD dst_unused:UNUSED_PAD src0_sel:WORD_1 src1_sel:WORD_1
	v_fmac_f16_e32 v39, 0x34f2, v38
	v_fmac_f16_e32 v1, 0x34f2, v38
	v_fma_f16 v30, -0.5, v30, v8
	v_lshrrev_b32_e32 v38, 16, v32
	v_bfi_b32 v25, 0xffff, v25, v36
	v_add_f16_sdwa v42, v29, v24 dst_sel:DWORD dst_unused:UNUSED_PAD src0_sel:DWORD src1_sel:WORD_1
	v_fmac_f16_e32 v29, -0.5, v37
	v_add_f16_e32 v26, v8, v24
	v_fmamk_f16 v37, v38, 0x3b9c, v30
	v_pk_mul_f16 v25, 0x38b434f2, v25
	v_fmac_f16_e32 v30, 0xbb9c, v38
	v_fmamk_f16 v38, v32, 0xbb9c, v29
	v_sub_f16_sdwa v43, v24, v21 dst_sel:DWORD dst_unused:UNUSED_PAD src0_sel:WORD_1 src1_sel:WORD_1
	v_sub_f16_sdwa v44, v22, v23 dst_sel:DWORD dst_unused:UNUSED_PAD src0_sel:WORD_1 src1_sel:WORD_1
	v_add_f16_e32 v26, v26, v21
	v_add_f16_sdwa v37, v25, v37 dst_sel:DWORD dst_unused:UNUSED_PAD src0_sel:WORD_1 src1_sel:DWORD
	v_sub_f16_sdwa v30, v30, v25 dst_sel:DWORD dst_unused:UNUSED_PAD src0_sel:DWORD src1_sel:WORD_1
	v_fmac_f16_e32 v38, 0xb8b4, v36
	v_add_f16_e32 v43, v43, v44
	v_fmac_f16_e32 v29, 0x3b9c, v32
	v_add_f16_e32 v26, v26, v23
	v_add_f16_e32 v37, v25, v37
	;; [unrolled: 1-line block ×3, first 2 shown]
	v_add_f16_sdwa v30, v42, v21 dst_sel:DWORD dst_unused:UNUSED_PAD src0_sel:DWORD src1_sel:WORD_1
	v_fmac_f16_e32 v38, 0x34f2, v43
	v_fmac_f16_e32 v29, 0x38b4, v36
	v_add_f16_e32 v26, v26, v22
	v_pk_add_f16 v42, v24, v22
	v_pk_add_f16 v21, v21, v24 neg_lo:[0,1] neg_hi:[0,1]
	v_add_f16_sdwa v24, v30, v23 dst_sel:DWORD dst_unused:UNUSED_PAD src0_sel:DWORD src1_sel:WORD_1
	v_mul_f16_e32 v30, 0x38b4, v38
	v_fmac_f16_e32 v29, 0x34f2, v43
	v_mul_f16_e32 v43, 0x3a79, v25
	v_add_f16_e32 v45, v13, v19
	v_pk_add_f16 v23, v23, v22 neg_lo:[0,1] neg_hi:[0,1]
	v_add_f16_sdwa v22, v24, v22 dst_sel:DWORD dst_unused:UNUSED_PAD src0_sel:DWORD src1_sel:WORD_1
	v_fmac_f16_e32 v30, 0x3a79, v37
	v_mul_f16_e32 v24, 0xb8b4, v37
	v_mul_f16_e32 v37, 0x3a79, v29
	v_fma_f16 v29, v29, 0x38b4, -v43
	v_add_f16_e32 v43, v34, v26
	v_sub_f16_e32 v26, v34, v26
	v_add_f16_e32 v34, v4, v15
	v_fma_f16 v45, -0.5, v45, v4
	v_sub_f16_e32 v48, v14, v18
	v_add_f16_e32 v44, v41, v30
	v_fmac_f16_e32 v24, 0x3a79, v38
	v_fma_f16 v25, v25, 0xb8b4, -v37
	v_add_f16_e32 v37, v33, v29
	v_add_f16_e32 v38, v27, v22
	v_sub_f16_e32 v30, v41, v30
	v_sub_f16_e32 v29, v33, v29
	;; [unrolled: 1-line block ×3, first 2 shown]
	v_add_f16_e32 v27, v34, v13
	v_fmamk_f16 v33, v48, 0x3b9c, v45
	v_sub_f16_e32 v34, v16, v17
	v_sub_f16_e32 v41, v15, v13
	;; [unrolled: 1-line block ×3, first 2 shown]
	v_fmac_f16_e32 v45, 0xbb9c, v48
	v_add_f16_e32 v50, v15, v20
	v_fmac_f16_e32 v33, 0x38b4, v34
	v_add_f16_e32 v47, v40, v25
	v_add_f16_e32 v41, v41, v49
	v_fmac_f16_e32 v45, 0xb8b4, v34
	v_fmac_f16_e32 v4, -0.5, v50
	v_add_f16_e32 v27, v27, v19
	v_sub_f16_e32 v25, v40, v25
	v_fmac_f16_e32 v33, 0x34f2, v41
	v_fmac_f16_e32 v45, 0x34f2, v41
	v_add_f16_e32 v41, v5, v14
	v_fmamk_f16 v40, v34, 0xbb9c, v4
	v_add_f16_e32 v49, v16, v17
	v_sub_f16_e32 v50, v13, v15
	v_sub_f16_e32 v51, v19, v20
	v_fmac_f16_e32 v4, 0x3b9c, v34
	v_add_f16_e32 v34, v41, v16
	v_add_f16_e32 v27, v27, v20
	v_fma_f16 v41, -0.5, v49, v5
	v_sub_f16_e32 v15, v15, v20
	v_fmac_f16_e32 v40, 0x38b4, v48
	v_add_f16_e32 v20, v50, v51
	v_fmac_f16_e32 v4, 0xb8b4, v48
	v_add_f16_e32 v34, v34, v17
	v_fmamk_f16 v48, v15, 0xbb9c, v41
	v_sub_f16_e32 v13, v13, v19
	v_fmac_f16_e32 v40, 0x34f2, v20
	v_fmac_f16_e32 v4, 0x34f2, v20
	v_add_f16_e32 v19, v34, v18
	v_add_f16_e32 v20, v14, v18
	v_sub_f16_e32 v34, v14, v16
	v_sub_f16_e32 v49, v18, v17
	v_fmac_f16_e32 v41, 0x3b9c, v15
	v_fmac_f16_e32 v48, 0xb8b4, v13
	v_fmac_f16_e32 v5, -0.5, v20
	v_sub_f16_e32 v14, v16, v14
	v_sub_f16_e32 v16, v17, v18
	v_add_f16_e32 v17, v34, v49
	v_fmac_f16_e32 v41, 0x38b4, v13
	v_fmamk_f16 v18, v13, 0x3b9c, v5
	v_add_f16_e32 v20, v7, v9
	v_fmac_f16_e32 v5, 0xbb9c, v13
	v_fmac_f16_e32 v48, 0x34f2, v17
	;; [unrolled: 1-line block ×3, first 2 shown]
	v_pk_add_f16 v13, v9, v10 neg_lo:[0,1] neg_hi:[0,1]
	s_waitcnt vmcnt(0)
	v_pk_add_f16 v17, v11, v12 neg_lo:[0,1] neg_hi:[0,1]
	v_add_f16_e32 v14, v14, v16
	v_add_f16_e32 v16, v20, v10
	;; [unrolled: 1-line block ×3, first 2 shown]
	v_pk_add_f16 v34, v9, v11 neg_lo:[0,1] neg_hi:[0,1]
	v_pk_add_f16 v49, v10, v12 neg_lo:[0,1] neg_hi:[0,1]
	v_pk_add_f16 v13, v13, v17
	v_add_f16_e32 v16, v16, v12
	v_lshrrev_b32_e32 v17, 16, v7
	v_add_f16_sdwa v50, v10, v12 dst_sel:DWORD dst_unused:UNUSED_PAD src0_sel:WORD_1 src1_sel:WORD_1
	v_fma_f16 v20, -0.5, v20, v7
	v_lshrrev_b32_e32 v51, 16, v34
	v_bfi_b32 v13, 0xffff, v13, v49
	v_fmac_f16_e32 v18, 0xb8b4, v15
	v_add_f16_sdwa v52, v17, v9 dst_sel:DWORD dst_unused:UNUSED_PAD src0_sel:DWORD src1_sel:WORD_1
	v_fmac_f16_e32 v17, -0.5, v50
	v_fmac_f16_e32 v5, 0x38b4, v15
	v_add_f16_e32 v15, v16, v11
	v_fmamk_f16 v16, v51, 0x3b9c, v20
	v_pk_mul_f16 v13, 0x38b434f2, v13
	v_fmac_f16_e32 v20, 0xbb9c, v51
	v_fmamk_f16 v50, v34, 0xbb9c, v17
	v_sub_f16_sdwa v53, v9, v10 dst_sel:DWORD dst_unused:UNUSED_PAD src0_sel:WORD_1 src1_sel:WORD_1
	v_sub_f16_sdwa v54, v11, v12 dst_sel:DWORD dst_unused:UNUSED_PAD src0_sel:WORD_1 src1_sel:WORD_1
	v_add_f16_sdwa v16, v13, v16 dst_sel:DWORD dst_unused:UNUSED_PAD src0_sel:WORD_1 src1_sel:DWORD
	v_fmac_f16_e32 v17, 0x3b9c, v34
	v_sub_f16_sdwa v20, v20, v13 dst_sel:DWORD dst_unused:UNUSED_PAD src0_sel:DWORD src1_sel:WORD_1
	v_add_f16_sdwa v52, v52, v10 dst_sel:DWORD dst_unused:UNUSED_PAD src0_sel:DWORD src1_sel:WORD_1
	v_add_f16_e32 v51, v53, v54
	v_add_f16_e32 v16, v13, v16
	v_fmac_f16_e32 v17, 0x38b4, v49
	v_add_f16_e32 v13, v13, v20
	v_pk_add_f16 v20, v9, v11
	v_add_f16_sdwa v52, v52, v12 dst_sel:DWORD dst_unused:UNUSED_PAD src0_sel:DWORD src1_sel:WORD_1
	v_pk_add_f16 v9, v10, v9 neg_lo:[0,1] neg_hi:[0,1]
	v_fmac_f16_e32 v17, 0x34f2, v51
	v_mul_f16_e32 v53, 0x3a79, v13
	v_pk_add_f16 v10, v12, v11 neg_lo:[0,1] neg_hi:[0,1]
	v_fmac_f16_e32 v50, 0xb8b4, v49
	v_pk_fma_f16 v8, v42, 0.5, v8 op_sel_hi:[1,0,1] neg_lo:[1,0,0] neg_hi:[1,0,0]
	v_pk_mul_f16 v32, 0x38b4, v32 op_sel_hi:[0,1]
	v_fma_f16 v12, v17, 0x38b4, -v53
	v_mul_f16_e32 v17, 0x3a79, v17
	v_fmac_f16_e32 v50, 0x34f2, v51
	v_pk_add_f16 v21, v21, v23
	v_add_f16_sdwa v11, v52, v11 dst_sel:DWORD dst_unused:UNUSED_PAD src0_sel:DWORD src1_sel:WORD_1
	v_add_f16_e32 v52, v27, v15
	v_fma_f16 v13, v13, 0xb8b4, -v17
	v_pk_mul_f16 v17, 0x3b9c, v36 op_sel_hi:[0,1]
	v_mul_f16_e32 v51, 0x38b4, v50
	v_sub_f16_e32 v15, v27, v15
	v_mul_f16_e32 v28, 0x34f2, v28
	v_pack_b32_f16 v31, v6, v31
	v_pk_add_f16 v55, v8, v17 op_sel:[0,1] op_sel_hi:[1,0] neg_lo:[0,1] neg_hi:[0,1]
	v_pk_add_f16 v8, v17, v8 op_sel:[1,0] op_sel_hi:[0,1]
	v_fmac_f16_e32 v51, 0x3a79, v16
	v_mul_f16_e32 v16, 0xb8b4, v16
	v_pk_fma_f16 v7, v20, 0.5, v7 op_sel_hi:[1,0,1] neg_lo:[1,0,0] neg_hi:[1,0,0]
	v_pk_add_f16 v23, v32, v55 op_sel:[1,0] op_sel_hi:[0,1]
	v_pk_add_f16 v8, v8, v32 op_sel:[0,1] op_sel_hi:[1,0] neg_lo:[0,1] neg_hi:[0,1]
	v_add_f16_e32 v53, v33, v51
	v_fmac_f16_e32 v16, 0x3a79, v50
	v_add_f16_e32 v50, v41, v13
	v_pk_fma_f16 v23, 0x34f2, v21, v23 op_sel_hi:[0,1,1]
	v_pk_fma_f16 v8, 0x34f2, v21, v8 op_sel_hi:[0,1,1]
	v_sub_f16_e32 v27, v33, v51
	v_sub_f16_e32 v13, v41, v13
	v_pk_mul_f16 v20, 0x3b9c, v49 op_sel_hi:[0,1]
	v_mul_f16_e32 v21, 0x34f2, v23
	v_lshrrev_b32_e32 v32, 16, v8
	v_mul_f16_e32 v33, 0x34f2, v8
	v_lshrrev_b32_e32 v41, 16, v23
	v_pk_mul_f16 v23, 0x34f23b9c, v23
	v_pk_add_f16 v28, v28, v31 op_sel_hi:[0,1]
	v_fmac_f16_e32 v21, 0x3b9c, v32
	v_mul_u32_u24_e32 v17, 10, v0
	v_fma_f16 v32, v41, 0x3b9c, -v33
	v_pk_fma_f16 v8, 0x34f2bb9c, v8, v23 op_sel:[0,0,1] op_sel_hi:[1,1,0] neg_lo:[0,0,1] neg_hi:[0,0,1]
	v_pk_add_f16 v9, v9, v10
	v_add_f16_e32 v23, v39, v21
	v_sub_f16_e32 v21, v39, v21
	v_add_f16_e32 v31, v1, v32
	v_sub_f16_e32 v1, v1, v32
	v_pk_mul_f16 v32, 0x38b4, v34 op_sel_hi:[0,1]
	v_pk_add_f16 v34, v7, v20 op_sel:[0,1] op_sel_hi:[1,0] neg_lo:[0,1] neg_hi:[0,1]
	v_pk_add_f16 v7, v20, v7 op_sel:[1,0] op_sel_hi:[0,1]
	v_lshl_add_u32 v17, v17, 1, 0
	v_pack_b32_f16 v20, v23, v31
	v_pack_b32_f16 v23, v43, v44
	v_pk_add_f16 v10, v32, v34 op_sel:[1,0] op_sel_hi:[0,1]
	v_pk_add_f16 v7, v7, v32 op_sel:[0,1] op_sel_hi:[1,0] neg_lo:[0,1] neg_hi:[0,1]
	v_pack_b32_f16 v21, v30, v21
	v_pack_b32_f16 v26, v37, v26
	ds_write2_b32 v17, v23, v20 offset1:1
	ds_write2_b32 v17, v26, v21 offset0:2 offset1:3
	v_pk_fma_f16 v10, 0x34f2, v9, v10 op_sel_hi:[0,1,1]
	v_pk_fma_f16 v7, 0x34f2, v9, v7 op_sel_hi:[0,1,1]
	v_pack_b32_f16 v1, v1, v29
	v_pk_add_f16 v33, v28, v8
	v_sub_f16_e32 v30, v28, v8
	v_mul_f16_e32 v9, 0x34f2, v10
	v_lshrrev_b32_e32 v20, 16, v7
	v_mul_f16_e32 v21, 0x34f2, v7
	v_lshrrev_b32_e32 v23, 16, v10
	v_bfi_b32 v26, 0xffff, v35, v28
	v_bfi_b32 v8, 0xffff, v24, v8
	ds_write_b32 v17, v1 offset:16
	v_fmac_f16_e32 v9, 0x3b9c, v20
	v_fma_f16 v1, v23, 0x3b9c, -v21
	v_mul_f16_e32 v14, 0x34f2, v14
	v_pack_b32_f16 v5, v5, v18
	v_pk_add_f16 v18, v26, v8 neg_lo:[0,1] neg_hi:[0,1]
	v_pk_mul_f16 v8, 0x34f23b9c, v10
	v_add_f16_e32 v10, v40, v9
	v_add_f16_e32 v20, v4, v1
	;; [unrolled: 1-line block ×3, first 2 shown]
	v_pk_add_f16 v14, v14, v5 op_sel_hi:[0,1]
	v_sub_f16_e32 v5, v40, v9
	v_sub_f16_e32 v12, v45, v12
	;; [unrolled: 1-line block ×3, first 2 shown]
	v_add_f16_e32 v36, v19, v11
	v_sub_f16_e32 v11, v19, v11
	v_add_nc_u32_e32 v19, 0xfa0, v17
	v_pk_fma_f16 v7, 0x34f2bb9c, v7, v8 op_sel:[0,0,1] op_sel_hi:[1,1,0] neg_lo:[0,0,1] neg_hi:[0,0,1]
	v_pack_b32_f16 v4, v10, v20
	v_pack_b32_f16 v8, v52, v53
	v_add_nc_u32_e32 v45, 0xfa8, v17
	v_pack_b32_f16 v5, v27, v5
	v_pack_b32_f16 v9, v54, v15
	;; [unrolled: 1-line block ×3, first 2 shown]
	ds_write2_b32 v19, v8, v4 offset1:1
	ds_write2_b32 v45, v9, v5 offset1:1
	ds_write_b32 v17, v1 offset:4016
	v_and_b32_e32 v1, 0xff, v0
	v_add_f16_e32 v46, v35, v24
	v_mad_i32_i24 v6, 0xffffffee, v0, v17
	v_alignbit_b32 v9, v33, v33, 16
	s_waitcnt lgkmcnt(0)
	v_mul_lo_u16 v1, 0xcd, v1
	v_pack_b32_f16 v15, v38, v46
	s_barrier
	buffer_gl0_inv
	ds_read_u16 v8, v6
	ds_read_u16 v20, v6 offset:3200
	ds_read_u16 v24, v6 offset:6400
	;; [unrolled: 1-line block ×12, first 2 shown]
	v_lshrrev_b16 v5, 11, v1
	ds_read_u16 v35, v6 offset:4800
	ds_read_u16 v37, v6 offset:4400
	;; [unrolled: 1-line block ×7, first 2 shown]
	s_waitcnt lgkmcnt(0)
	v_pack_b32_f16 v1, v47, v22
	s_barrier
	buffer_gl0_inv
	ds_write2_b32 v17, v15, v9 offset1:1
	v_mul_lo_u16 v9, v5, 10
	v_pk_add_f16 v10, v14, v7
	v_sub_f16_e32 v12, v14, v7
	ds_write2_b32 v17, v1, v18 offset0:2 offset1:3
	v_bfi_b32 v14, 0xffff, v48, v14
	v_bfi_b32 v7, 0xffff, v16, v7
	v_sub_nc_u16 v9, v0, v9
	v_mov_b32_e32 v1, 9
	v_add_f16_e32 v42, v48, v16
	v_pack_b32_f16 v15, v30, v25
	v_pk_add_f16 v7, v14, v7 neg_lo:[0,1] neg_hi:[0,1]
	v_pack_b32_f16 v12, v12, v13
	v_mul_u32_u24_sdwa v14, v9, v1 dst_sel:DWORD dst_unused:UNUSED_PAD src0_sel:BYTE_0 src1_sel:DWORD
	v_alignbit_b32 v10, v10, v10, 16
	v_pack_b32_f16 v16, v36, v42
	v_pack_b32_f16 v11, v50, v11
	ds_write_b32 v17, v15 offset:16
	ds_write2_b32 v19, v16, v10 offset1:1
	ds_write2_b32 v45, v11, v7 offset1:1
	v_lshlrev_b32_e32 v22, 2, v14
	ds_write_b32 v17, v12 offset:4016
	s_waitcnt lgkmcnt(0)
	s_barrier
	buffer_gl0_inv
	s_clause 0x1
	global_load_dwordx4 v[12:15], v22, s[8:9]
	global_load_dwordx4 v[16:19], v22, s[8:9] offset:16
	ds_read_u16 v25, v6 offset:800
	v_add_nc_u32_e32 v7, 0xc8, v0
	v_mov_b32_e32 v10, 0xcccd
	ds_read_u16 v30, v6 offset:1600
	ds_read_u16 v33, v6 offset:3200
	;; [unrolled: 1-line block ×15, first 2 shown]
	global_load_dword v61, v22, s[8:9] offset:32
	v_mul_u32_u24_sdwa v10, v7, v10 dst_sel:DWORD dst_unused:UNUSED_PAD src0_sel:WORD_0 src1_sel:DWORD
	ds_read_u16 v55, v6 offset:7600
	v_cmp_gt_u32_e64 s0, 0x64, v0
	v_lshrrev_b32_e32 v10, 19, v10
	v_mul_lo_u16 v57, v10, 10
	s_waitcnt vmcnt(2) lgkmcnt(16)
	v_mul_f16_sdwa v51, v25, v12 dst_sel:DWORD dst_unused:UNUSED_PAD src0_sel:DWORD src1_sel:WORD_1
	v_mul_f16_sdwa v56, v26, v12 dst_sel:DWORD dst_unused:UNUSED_PAD src0_sel:DWORD src1_sel:WORD_1
	;; [unrolled: 1-line block ×3, first 2 shown]
	s_waitcnt lgkmcnt(10)
	v_mul_f16_sdwa v59, v45, v14 dst_sel:DWORD dst_unused:UNUSED_PAD src0_sel:DWORD src1_sel:WORD_1
	s_waitcnt vmcnt(1)
	v_mul_f16_sdwa v62, v35, v17 dst_sel:DWORD dst_unused:UNUSED_PAD src0_sel:DWORD src1_sel:WORD_1
	v_fma_f16 v51, v26, v12, -v51
	v_fmac_f16_e32 v56, v25, v12
	v_sub_nc_u16 v12, v7, v57
	v_mul_f16_sdwa v26, v30, v13 dst_sel:DWORD dst_unused:UNUSED_PAD src0_sel:DWORD src1_sel:WORD_1
	v_fmac_f16_e32 v58, v30, v13
	v_fma_f16 v30, v21, v14, -v59
	v_mul_f16_sdwa v57, v21, v14 dst_sel:DWORD dst_unused:UNUSED_PAD src0_sel:DWORD src1_sel:WORD_1
	v_mul_u32_u24_sdwa v21, v12, v1 dst_sel:DWORD dst_unused:UNUSED_PAD src0_sel:WORD_0 src1_sel:DWORD
	v_fma_f16 v60, v23, v13, -v26
	v_mul_f16_sdwa v13, v33, v15 dst_sel:DWORD dst_unused:UNUSED_PAD src0_sel:DWORD src1_sel:WORD_1
	v_mul_f16_sdwa v59, v20, v15 dst_sel:DWORD dst_unused:UNUSED_PAD src0_sel:DWORD src1_sel:WORD_1
	;; [unrolled: 1-line block ×3, first 2 shown]
	v_fmac_f16_e32 v57, v45, v14
	v_lshlrev_b32_e32 v14, 2, v21
	v_fma_f16 v45, v20, v15, -v13
	v_fmac_f16_e32 v59, v33, v15
	v_fma_f16 v33, v39, v16, -v23
	s_waitcnt lgkmcnt(3)
	v_mul_f16_sdwa v13, v52, v17 dst_sel:DWORD dst_unused:UNUSED_PAD src0_sel:DWORD src1_sel:WORD_1
	global_load_dwordx4 v[20:23], v14, s[8:9]
	v_mul_f16_sdwa v39, v39, v16 dst_sel:DWORD dst_unused:UNUSED_PAD src0_sel:DWORD src1_sel:WORD_1
	v_mul_f16_sdwa v15, v49, v18 dst_sel:DWORD dst_unused:UNUSED_PAD src0_sel:DWORD src1_sel:WORD_1
	;; [unrolled: 1-line block ×3, first 2 shown]
	v_fma_f16 v35, v35, v17, -v13
	v_mul_f16_sdwa v13, v38, v19 dst_sel:DWORD dst_unused:UNUSED_PAD src0_sel:DWORD src1_sel:WORD_1
	v_mul_f16_sdwa v64, v24, v19 dst_sel:DWORD dst_unused:UNUSED_PAD src0_sel:DWORD src1_sel:WORD_1
	v_fmac_f16_e32 v39, v36, v16
	ds_read_u16 v36, v6 offset:6800
	v_fmac_f16_e32 v62, v52, v17
	v_fma_f16 v52, v27, v18, -v15
	v_fmac_f16_e32 v63, v49, v18
	v_fma_f16 v18, v24, v19, -v13
	v_fmac_f16_e32 v64, v38, v19
	s_clause 0x1
	global_load_dwordx4 v[24:27], v14, s[8:9] offset:16
	global_load_dword v19, v14, s[8:9] offset:32
	ds_read_u16 v13, v6 offset:7200
	s_waitcnt vmcnt(3)
	v_mul_f16_sdwa v38, v43, v61 dst_sel:DWORD dst_unused:UNUSED_PAD src0_sel:DWORD src1_sel:WORD_1
	s_waitcnt lgkmcnt(0)
	v_mul_f16_sdwa v14, v13, v61 dst_sel:DWORD dst_unused:UNUSED_PAD src0_sel:DWORD src1_sel:WORD_1
	v_fmac_f16_e32 v38, v13, v61
	v_fma_f16 v43, v43, v61, -v14
	s_waitcnt vmcnt(2)
	v_mul_f16_sdwa v13, v47, v20 dst_sel:DWORD dst_unused:UNUSED_PAD src0_sel:DWORD src1_sel:WORD_1
	v_mul_f16_sdwa v14, v31, v20 dst_sel:DWORD dst_unused:UNUSED_PAD src0_sel:DWORD src1_sel:WORD_1
	;; [unrolled: 1-line block ×5, first 2 shown]
	v_fma_f16 v13, v31, v20, -v13
	v_fmac_f16_e32 v14, v47, v20
	v_mul_f16_sdwa v20, v29, v21 dst_sel:DWORD dst_unused:UNUSED_PAD src0_sel:DWORD src1_sel:WORD_1
	v_fma_f16 v29, v29, v21, -v15
	v_mul_f16_sdwa v15, v54, v23 dst_sel:DWORD dst_unused:UNUSED_PAD src0_sel:DWORD src1_sel:WORD_1
	v_fmac_f16_e32 v16, v42, v22
	ds_read_u16 v31, v6
	v_fmac_f16_e32 v20, v46, v21
	v_fma_f16 v21, v28, v22, -v17
	v_mul_f16_sdwa v22, v40, v23 dst_sel:DWORD dst_unused:UNUSED_PAD src0_sel:DWORD src1_sel:WORD_1
	s_waitcnt vmcnt(1)
	v_mul_f16_sdwa v17, v53, v24 dst_sel:DWORD dst_unused:UNUSED_PAD src0_sel:DWORD src1_sel:WORD_1
	v_fma_f16 v28, v40, v23, -v15
	v_mul_f16_sdwa v40, v34, v25 dst_sel:DWORD dst_unused:UNUSED_PAD src0_sel:DWORD src1_sel:WORD_1
	v_mul_f16_sdwa v42, v48, v26 dst_sel:DWORD dst_unused:UNUSED_PAD src0_sel:DWORD src1_sel:WORD_1
	v_fmac_f16_e32 v22, v54, v23
	v_fma_f16 v23, v37, v24, -v17
	v_mul_f16_sdwa v17, v37, v24 dst_sel:DWORD dst_unused:UNUSED_PAD src0_sel:DWORD src1_sel:WORD_1
	v_mul_f16_sdwa v37, v50, v25 dst_sel:DWORD dst_unused:UNUSED_PAD src0_sel:DWORD src1_sel:WORD_1
	;; [unrolled: 1-line block ×3, first 2 shown]
	v_fmac_f16_e32 v40, v50, v25
	v_sub_f16_e32 v46, v58, v64
	v_fmac_f16_e32 v17, v53, v24
	v_fma_f16 v24, v34, v25, -v37
	v_fma_f16 v25, v32, v26, -v42
	v_mul_f16_sdwa v34, v44, v27 dst_sel:DWORD dst_unused:UNUSED_PAD src0_sel:DWORD src1_sel:WORD_1
	v_add_f16_e32 v42, v8, v60
	v_fmac_f16_e32 v15, v48, v26
	v_add_f16_e32 v26, v45, v35
	v_mul_f16_sdwa v32, v36, v27 dst_sel:DWORD dst_unused:UNUSED_PAD src0_sel:DWORD src1_sel:WORD_1
	s_waitcnt vmcnt(0)
	v_mul_f16_sdwa v37, v55, v19 dst_sel:DWORD dst_unused:UNUSED_PAD src0_sel:DWORD src1_sel:WORD_1
	v_fmac_f16_e32 v34, v36, v27
	v_add_f16_e32 v36, v42, v45
	v_add_f16_e32 v48, v60, v18
	v_fma_f16 v26, -0.5, v26, v8
	v_fma_f16 v32, v44, v27, -v32
	v_fma_f16 v27, v41, v19, -v37
	v_sub_f16_e32 v42, v59, v62
	v_sub_f16_e32 v44, v60, v45
	;; [unrolled: 1-line block ×3, first 2 shown]
	v_mul_f16_sdwa v41, v41, v19 dst_sel:DWORD dst_unused:UNUSED_PAD src0_sel:DWORD src1_sel:WORD_1
	v_add_f16_e32 v36, v36, v35
	v_fmac_f16_e32 v8, -0.5, v48
	v_fmamk_f16 v37, v46, 0x3b9c, v26
	v_add_f16_e32 v44, v44, v47
	v_fmac_f16_e32 v41, v55, v19
	v_add_f16_e32 v19, v36, v18
	v_fmac_f16_e32 v26, 0xbb9c, v46
	v_fmamk_f16 v36, v42, 0xbb9c, v8
	v_sub_f16_e32 v47, v45, v60
	v_sub_f16_e32 v48, v35, v18
	v_add_f16_e32 v50, v59, v62
	v_fmac_f16_e32 v8, 0x3b9c, v42
	v_fmac_f16_e32 v37, 0x38b4, v42
	;; [unrolled: 1-line block ×3, first 2 shown]
	s_waitcnt lgkmcnt(0)
	v_add_f16_e32 v49, v31, v58
	v_fmac_f16_e32 v36, 0x38b4, v46
	v_add_f16_e32 v47, v47, v48
	v_fma_f16 v48, -0.5, v50, v31
	v_sub_f16_e32 v18, v60, v18
	v_fmac_f16_e32 v8, 0xb8b4, v46
	v_add_f16_e32 v46, v58, v64
	v_fmac_f16_e32 v37, 0x34f2, v44
	v_add_f16_e32 v42, v49, v59
	v_fmac_f16_e32 v26, 0x34f2, v44
	v_fmamk_f16 v44, v18, 0xbb9c, v48
	v_sub_f16_e32 v35, v45, v35
	v_sub_f16_e32 v45, v58, v59
	v_sub_f16_e32 v49, v64, v62
	v_fmac_f16_e32 v31, -0.5, v46
	v_fmac_f16_e32 v48, 0x3b9c, v18
	v_fmac_f16_e32 v36, 0x34f2, v47
	v_fmac_f16_e32 v8, 0x34f2, v47
	v_fmac_f16_e32 v44, 0xb8b4, v35
	v_add_f16_e32 v45, v45, v49
	v_fmamk_f16 v46, v35, 0x3b9c, v31
	v_sub_f16_e32 v47, v59, v58
	v_sub_f16_e32 v49, v62, v64
	v_add_f16_e32 v50, v51, v30
	v_fmac_f16_e32 v48, 0x38b4, v35
	v_fmac_f16_e32 v31, 0xbb9c, v35
	v_fmac_f16_e32 v44, 0x34f2, v45
	v_fmac_f16_e32 v46, 0xb8b4, v18
	v_add_f16_e32 v47, v47, v49
	v_add_f16_e32 v35, v50, v33
	;; [unrolled: 1-line block ×3, first 2 shown]
	v_fmac_f16_e32 v48, 0x34f2, v45
	v_fmac_f16_e32 v31, 0x38b4, v18
	v_add_f16_e32 v45, v30, v43
	v_fmac_f16_e32 v46, 0x34f2, v47
	v_add_f16_e32 v18, v35, v52
	v_fma_f16 v35, -0.5, v49, v51
	v_sub_f16_e32 v49, v57, v38
	v_fmac_f16_e32 v31, 0x34f2, v47
	v_sub_f16_e32 v47, v39, v63
	v_fmac_f16_e32 v51, -0.5, v45
	v_sub_f16_e32 v50, v30, v33
	v_fmamk_f16 v45, v49, 0x3b9c, v35
	v_fmac_f16_e32 v35, 0xbb9c, v49
	v_sub_f16_e32 v53, v43, v52
	v_fmamk_f16 v54, v47, 0xbb9c, v51
	v_fmac_f16_e32 v51, 0x3b9c, v47
	v_sub_f16_e32 v55, v33, v30
	v_sub_f16_e32 v58, v52, v43
	v_fmac_f16_e32 v45, 0x38b4, v47
	v_fmac_f16_e32 v35, 0xb8b4, v47
	;; [unrolled: 1-line block ×3, first 2 shown]
	v_add_f16_e32 v47, v39, v63
	v_fmac_f16_e32 v51, 0xb8b4, v49
	v_add_f16_e32 v49, v57, v38
	v_add_f16_e32 v18, v18, v43
	;; [unrolled: 1-line block ×4, first 2 shown]
	v_fma_f16 v47, -0.5, v47, v56
	v_sub_f16_e32 v30, v30, v43
	v_add_f16_e32 v43, v56, v57
	v_sub_f16_e32 v33, v33, v52
	v_fmac_f16_e32 v56, -0.5, v49
	v_fmac_f16_e32 v45, 0x34f2, v50
	v_fmac_f16_e32 v35, 0x34f2, v50
	;; [unrolled: 1-line block ×4, first 2 shown]
	v_fmamk_f16 v49, v30, 0xbb9c, v47
	v_sub_f16_e32 v50, v57, v39
	v_sub_f16_e32 v52, v38, v63
	v_fmamk_f16 v53, v33, 0x3b9c, v56
	v_sub_f16_e32 v55, v39, v57
	v_sub_f16_e32 v57, v63, v38
	v_fmac_f16_e32 v49, 0xb8b4, v33
	v_add_f16_e32 v50, v50, v52
	v_fmac_f16_e32 v56, 0xbb9c, v33
	v_fmac_f16_e32 v53, 0xb8b4, v30
	v_add_f16_e32 v52, v55, v57
	v_add_f16_e32 v39, v43, v39
	v_fmac_f16_e32 v47, 0x3b9c, v30
	v_fmac_f16_e32 v56, 0x38b4, v30
	;; [unrolled: 1-line block ×4, first 2 shown]
	v_add_f16_e32 v30, v39, v63
	v_fmac_f16_e32 v47, 0x38b4, v33
	v_fmac_f16_e32 v56, 0x34f2, v52
	v_mul_f16_e32 v33, 0x38b4, v49
	v_mul_f16_e32 v39, 0x3b9c, v53
	;; [unrolled: 1-line block ×3, first 2 shown]
	v_add_f16_e32 v42, v42, v62
	v_add_f16_e32 v30, v30, v38
	v_fmac_f16_e32 v47, 0x34f2, v50
	v_fmac_f16_e32 v33, 0x3a79, v45
	;; [unrolled: 1-line block ×3, first 2 shown]
	v_fma_f16 v38, v56, 0x3b9c, -v43
	v_mul_f16_e32 v43, 0x3a79, v35
	v_mul_f16_e32 v54, 0xbb9c, v54
	v_add_f16_e32 v42, v42, v64
	v_add_f16_e32 v50, v19, v18
	;; [unrolled: 1-line block ×3, first 2 shown]
	v_fma_f16 v43, v47, 0x38b4, -v43
	v_mul_f16_e32 v45, 0xb8b4, v45
	v_mul_f16_e32 v47, 0x3a79, v47
	v_fmac_f16_e32 v54, 0x34f2, v53
	v_sub_f16_e32 v18, v19, v18
	v_sub_f16_e32 v19, v37, v33
	v_add_f16_e32 v33, v28, v24
	v_add_f16_e32 v57, v8, v38
	v_mul_f16_e32 v56, 0x34f2, v56
	v_fmac_f16_e32 v45, 0x3a79, v49
	v_fma_f16 v35, v35, 0xb8b4, -v47
	v_add_f16_e32 v47, v42, v30
	v_add_f16_e32 v53, v46, v54
	v_sub_f16_e32 v37, v8, v38
	v_add_f16_e32 v8, v4, v29
	v_fma_f16 v33, -0.5, v33, v4
	v_sub_f16_e32 v38, v20, v34
	v_sub_f16_e32 v30, v42, v30
	;; [unrolled: 1-line block ×3, first 2 shown]
	v_add_f16_e32 v54, v29, v32
	v_add_f16_e32 v55, v36, v39
	;; [unrolled: 1-line block ×3, first 2 shown]
	v_fma_f16 v49, v51, 0xbb9c, -v56
	v_add_f16_e32 v51, v44, v45
	v_sub_f16_e32 v36, v36, v39
	v_sub_f16_e32 v26, v26, v43
	;; [unrolled: 1-line block ×3, first 2 shown]
	v_add_f16_e32 v8, v8, v28
	v_fmamk_f16 v43, v38, 0x3b9c, v33
	v_sub_f16_e32 v44, v22, v40
	v_sub_f16_e32 v45, v29, v28
	;; [unrolled: 1-line block ×3, first 2 shown]
	v_fmac_f16_e32 v4, -0.5, v54
	v_fmac_f16_e32 v33, 0xbb9c, v38
	v_add_f16_e32 v54, v11, v20
	v_add_f16_e32 v56, v31, v49
	;; [unrolled: 1-line block ×3, first 2 shown]
	v_sub_f16_e32 v31, v31, v49
	v_add_f16_e32 v8, v8, v24
	v_fmac_f16_e32 v43, 0x38b4, v44
	v_add_f16_e32 v45, v45, v46
	v_sub_f16_e32 v35, v48, v35
	v_fmamk_f16 v46, v44, 0xbb9c, v4
	v_sub_f16_e32 v48, v28, v29
	v_sub_f16_e32 v49, v24, v32
	v_fmac_f16_e32 v33, 0xb8b4, v44
	v_add_f16_e32 v60, v22, v40
	v_fmac_f16_e32 v4, 0x3b9c, v44
	v_add_f16_e32 v44, v54, v22
	v_add_f16_e32 v8, v8, v32
	;; [unrolled: 1-line block ×3, first 2 shown]
	v_fma_f16 v49, -0.5, v60, v11
	v_sub_f16_e32 v29, v29, v32
	v_add_f16_e32 v32, v44, v40
	v_add_f16_e32 v44, v20, v34
	v_fmac_f16_e32 v43, 0x34f2, v45
	v_fmac_f16_e32 v46, 0x38b4, v38
	;; [unrolled: 1-line block ×4, first 2 shown]
	v_fmamk_f16 v38, v29, 0xbb9c, v49
	v_sub_f16_e32 v24, v28, v24
	v_sub_f16_e32 v28, v20, v22
	;; [unrolled: 1-line block ×3, first 2 shown]
	v_fmac_f16_e32 v11, -0.5, v44
	v_add_f16_e32 v32, v32, v34
	v_fmac_f16_e32 v49, 0x3b9c, v29
	v_sub_f16_e32 v20, v22, v20
	v_sub_f16_e32 v22, v40, v34
	v_add_f16_e32 v34, v13, v21
	v_fmac_f16_e32 v38, 0xb8b4, v24
	v_add_f16_e32 v28, v28, v45
	v_fmamk_f16 v44, v24, 0x3b9c, v11
	v_fmac_f16_e32 v49, 0x38b4, v24
	v_add_f16_e32 v20, v20, v22
	v_fmac_f16_e32 v11, 0xbb9c, v24
	v_add_f16_e32 v22, v34, v23
	v_add_f16_e32 v24, v23, v25
	v_fmac_f16_e32 v38, 0x34f2, v28
	v_fmac_f16_e32 v44, 0xb8b4, v29
	;; [unrolled: 1-line block ×4, first 2 shown]
	v_add_f16_e32 v22, v22, v25
	v_fma_f16 v24, -0.5, v24, v13
	v_add_f16_e32 v28, v21, v27
	v_sub_f16_e32 v29, v16, v41
	v_fmac_f16_e32 v44, 0x34f2, v20
	v_fmac_f16_e32 v11, 0x34f2, v20
	v_add_f16_e32 v20, v22, v27
	v_sub_f16_e32 v22, v17, v15
	v_fmac_f16_e32 v13, -0.5, v28
	v_fmamk_f16 v28, v29, 0x3b9c, v24
	v_fmac_f16_e32 v24, 0xbb9c, v29
	v_sub_f16_e32 v34, v21, v23
	v_sub_f16_e32 v40, v27, v25
	v_fmamk_f16 v45, v22, 0xbb9c, v13
	v_fmac_f16_e32 v28, 0x38b4, v22
	v_fmac_f16_e32 v24, 0xb8b4, v22
	;; [unrolled: 1-line block ×3, first 2 shown]
	v_add_f16_e32 v22, v17, v15
	v_fmac_f16_e32 v46, 0x34f2, v48
	v_fmac_f16_e32 v4, 0x34f2, v48
	v_sub_f16_e32 v48, v23, v21
	v_sub_f16_e32 v54, v25, v27
	v_add_f16_e32 v34, v34, v40
	v_fmac_f16_e32 v45, 0x38b4, v29
	v_fmac_f16_e32 v13, 0xb8b4, v29
	v_add_f16_e32 v29, v16, v41
	v_fma_f16 v22, -0.5, v22, v14
	v_sub_f16_e32 v21, v21, v27
	v_add_f16_e32 v40, v48, v54
	v_fmac_f16_e32 v28, 0x34f2, v34
	v_fmac_f16_e32 v24, 0x34f2, v34
	v_add_f16_e32 v27, v14, v16
	v_sub_f16_e32 v23, v23, v25
	v_fmac_f16_e32 v14, -0.5, v29
	v_fmamk_f16 v25, v21, 0xbb9c, v22
	v_sub_f16_e32 v29, v16, v17
	v_sub_f16_e32 v34, v41, v15
	v_fmac_f16_e32 v45, 0x34f2, v40
	v_fmac_f16_e32 v13, 0x34f2, v40
	v_fmamk_f16 v40, v23, 0x3b9c, v14
	v_sub_f16_e32 v16, v17, v16
	v_sub_f16_e32 v48, v15, v41
	v_fmac_f16_e32 v25, 0xb8b4, v23
	v_add_f16_e32 v29, v29, v34
	v_fmac_f16_e32 v14, 0xbb9c, v23
	v_fmac_f16_e32 v40, 0xb8b4, v21
	v_add_f16_e32 v16, v16, v48
	v_fmac_f16_e32 v22, 0x3b9c, v21
	v_fmac_f16_e32 v25, 0x34f2, v29
	;; [unrolled: 1-line block ×3, first 2 shown]
	v_add_f16_e32 v17, v27, v17
	v_fmac_f16_e32 v40, 0x34f2, v16
	v_fmac_f16_e32 v22, 0x38b4, v23
	v_add_f16_e32 v27, v8, v20
	v_fmac_f16_e32 v14, 0x34f2, v16
	v_mul_f16_e32 v16, 0x38b4, v25
	v_sub_f16_e32 v20, v8, v20
	v_fmac_f16_e32 v22, 0x34f2, v29
	v_mov_b32_e32 v8, 1
	v_mul_f16_e32 v21, 0x34f2, v13
	v_fmac_f16_e32 v16, 0x3a79, v28
	v_add_f16_e32 v15, v17, v15
	v_mul_f16_e32 v17, 0x3b9c, v40
	v_lshlrev_b32_sdwa v9, v8, v9 dst_sel:DWORD dst_unused:UNUSED_PAD src0_sel:DWORD src1_sel:BYTE_0
	v_mul_f16_e32 v23, 0x3a79, v24
	v_add_f16_e32 v29, v43, v16
	v_sub_f16_e32 v16, v43, v16
	v_mov_b32_e32 v43, 0xc8
	v_fma_f16 v21, v14, 0x3b9c, -v21
	v_fmac_f16_e32 v17, 0x34f2, v45
	v_fma_f16 v23, v22, 0x38b4, -v23
	v_add_f16_e32 v15, v15, v41
	v_mul_u32_u24_sdwa v5, v5, v43 dst_sel:DWORD dst_unused:UNUSED_PAD src0_sel:WORD_0 src1_sel:DWORD
	v_add_f16_e32 v41, v4, v21
	v_sub_f16_e32 v4, v4, v21
	s_barrier
	v_add3_u32 v5, 0, v5, v9
	v_mul_u32_u24_e32 v9, 0xc8, v10
	v_lshlrev_b32_sdwa v10, v8, v12 dst_sel:DWORD dst_unused:UNUSED_PAD src0_sel:DWORD src1_sel:WORD_0
	buffer_gl0_inv
	ds_write_b16 v5, v50
	ds_write_b16 v5, v52 offset:20
	ds_write_b16 v5, v55 offset:40
	ds_write_b16 v5, v57 offset:60
	ds_write_b16 v5, v58 offset:80
	ds_write_b16 v5, v18 offset:100
	v_add3_u32 v18, 0, v9, v10
	v_add_f16_e32 v34, v46, v17
	v_mul_f16_e32 v28, 0xb8b4, v28
	v_mul_f16_e32 v45, 0xbb9c, v45
	;; [unrolled: 1-line block ×4, first 2 shown]
	v_add_f16_e32 v48, v33, v23
	v_sub_f16_e32 v17, v46, v17
	v_sub_f16_e32 v21, v33, v23
	ds_write_b16 v5, v19 offset:120
	ds_write_b16 v5, v36 offset:140
	;; [unrolled: 1-line block ×4, first 2 shown]
	ds_write_b16 v18, v27
	ds_write_b16 v18, v29 offset:20
	ds_write_b16 v18, v34 offset:40
	;; [unrolled: 1-line block ×9, first 2 shown]
	v_add_nc_u32_e32 v4, 0xffffff9c, v0
	v_fmac_f16_e32 v28, 0x3a79, v25
	v_fmac_f16_e32 v45, 0x34f2, v40
	v_fma_f16 v13, v13, 0xbb9c, -v14
	v_fma_f16 v14, v24, 0xb8b4, -v22
	v_cndmask_b32_e64 v10, v4, v0, s0
	v_add_f16_e32 v22, v32, v15
	v_add_f16_e32 v24, v38, v28
	;; [unrolled: 1-line block ×4, first 2 shown]
	v_sub_f16_e32 v15, v32, v15
	v_sub_f16_e32 v23, v38, v28
	;; [unrolled: 1-line block ×4, first 2 shown]
	s_waitcnt lgkmcnt(0)
	s_barrier
	buffer_gl0_inv
	ds_read_u16 v12, v6
	ds_read_u16 v26, v6 offset:3200
	ds_read_u16 v27, v6 offset:6400
	;; [unrolled: 1-line block ×19, first 2 shown]
	s_waitcnt lgkmcnt(0)
	s_barrier
	buffer_gl0_inv
	ds_write_b16 v5, v47
	ds_write_b16 v5, v51 offset:20
	ds_write_b16 v5, v53 offset:40
	;; [unrolled: 1-line block ×9, first 2 shown]
	ds_write_b16 v18, v22
	v_mul_i32_i24_e32 v4, 9, v10
	v_mov_b32_e32 v5, 0
	v_add_f16_e32 v40, v11, v13
	v_sub_f16_e32 v11, v11, v13
	ds_write_b16 v18, v24 offset:20
	ds_write_b16 v18, v25 offset:40
	;; [unrolled: 1-line block ×4, first 2 shown]
	v_lshlrev_b64 v[13:14], 2, v[4:5]
	ds_write_b16 v18, v15 offset:100
	ds_write_b16 v18, v23 offset:120
	;; [unrolled: 1-line block ×5, first 2 shown]
	s_waitcnt lgkmcnt(0)
	s_barrier
	buffer_gl0_inv
	v_add_co_u32 v21, s0, s8, v13
	v_add_co_ci_u32_e64 v22, s0, s9, v14, s0
	s_clause 0x1
	global_load_dwordx4 v[13:16], v[21:22], off offset:360
	global_load_dwordx4 v[17:20], v[21:22], off offset:376
	ds_read_u16 v23, v6 offset:800
	ds_read_u16 v24, v6 offset:1600
	;; [unrolled: 1-line block ×8, first 2 shown]
	v_lshrrev_b16 v4, 2, v7
	v_mov_b32_e32 v39, 0x147b
	ds_read_u16 v11, v6 offset:400
	ds_read_u16 v40, v6 offset:6000
	;; [unrolled: 1-line block ×4, first 2 shown]
	v_cmp_lt_u32_e64 s0, 0x63, v0
	v_lshlrev_b32_e32 v10, 1, v10
	v_mul_u32_u24_sdwa v4, v4, v39 dst_sel:DWORD dst_unused:UNUSED_PAD src0_sel:WORD_0 src1_sel:DWORD
	ds_read_u16 v39, v6 offset:4800
	ds_read_u16 v51, v6 offset:4400
	;; [unrolled: 1-line block ×3, first 2 shown]
	v_lshrrev_b32_e32 v4, 17, v4
	s_waitcnt vmcnt(1) lgkmcnt(14)
	v_mul_f16_sdwa v53, v23, v13 dst_sel:DWORD dst_unused:UNUSED_PAD src0_sel:DWORD src1_sel:WORD_1
	v_mul_f16_sdwa v56, v38, v13 dst_sel:DWORD dst_unused:UNUSED_PAD src0_sel:DWORD src1_sel:WORD_1
	;; [unrolled: 1-line block ×4, first 2 shown]
	s_waitcnt vmcnt(0)
	v_mul_f16_sdwa v61, v27, v20 dst_sel:DWORD dst_unused:UNUSED_PAD src0_sel:DWORD src1_sel:WORD_1
	v_fma_f16 v38, v38, v13, -v53
	v_fmac_f16_e32 v56, v23, v13
	v_mul_lo_u16 v13, 0x64, v4
	s_waitcnt lgkmcnt(13)
	v_mul_f16_sdwa v53, v24, v14 dst_sel:DWORD dst_unused:UNUSED_PAD src0_sel:DWORD src1_sel:WORD_1
	s_waitcnt lgkmcnt(9)
	v_mul_f16_sdwa v23, v31, v15 dst_sel:DWORD dst_unused:UNUSED_PAD src0_sel:DWORD src1_sel:WORD_1
	v_fmac_f16_e32 v58, v24, v14
	v_fmac_f16_e32 v60, v25, v16
	v_sub_nc_u16 v7, v7, v13
	v_fma_f16 v36, v36, v14, -v53
	ds_read_u16 v53, v6 offset:7600
	ds_read_u16 v57, v6 offset:3600
	global_load_dword v14, v[21:22], off offset:392
	v_mul_u32_u24_sdwa v1, v7, v1 dst_sel:DWORD dst_unused:UNUSED_PAD src0_sel:WORD_0 src1_sel:DWORD
	s_waitcnt lgkmcnt(2)
	v_mul_f16_sdwa v21, v54, v17 dst_sel:DWORD dst_unused:UNUSED_PAD src0_sel:DWORD src1_sel:WORD_1
	v_fma_f16 v59, v33, v15, -v23
	v_mul_f16_sdwa v13, v25, v16 dst_sel:DWORD dst_unused:UNUSED_PAD src0_sel:DWORD src1_sel:WORD_1
	v_mul_f16_sdwa v33, v33, v15 dst_sel:DWORD dst_unused:UNUSED_PAD src0_sel:DWORD src1_sel:WORD_1
	v_lshlrev_b32_e32 v1, 2, v1
	v_fma_f16 v25, v48, v17, -v21
	v_fmac_f16_e32 v61, v28, v20
	v_fma_f16 v26, v26, v16, -v13
	v_fmac_f16_e32 v33, v31, v15
	global_load_dwordx4 v[21:24], v1, s[8:9] offset:360
	v_mul_f16_sdwa v31, v48, v17 dst_sel:DWORD dst_unused:UNUSED_PAD src0_sel:DWORD src1_sel:WORD_1
	v_mul_f16_sdwa v13, v39, v18 dst_sel:DWORD dst_unused:UNUSED_PAD src0_sel:DWORD src1_sel:WORD_1
	;; [unrolled: 1-line block ×4, first 2 shown]
	v_mul_u32_u24_e32 v4, 0x7d0, v4
	v_fmac_f16_e32 v31, v54, v17
	v_fma_f16 v45, v45, v18, -v13
	v_fmac_f16_e32 v48, v39, v18
	v_fma_f16 v39, v43, v19, -v15
	v_mul_f16_sdwa v43, v43, v19 dst_sel:DWORD dst_unused:UNUSED_PAD src0_sel:DWORD src1_sel:WORD_1
	v_mul_f16_sdwa v13, v28, v20 dst_sel:DWORD dst_unused:UNUSED_PAD src0_sel:DWORD src1_sel:WORD_1
	ds_read_u16 v54, v6 offset:6800
	v_lshlrev_b32_sdwa v7, v8, v7 dst_sel:DWORD dst_unused:UNUSED_PAD src0_sel:DWORD src1_sel:WORD_0
	v_fmac_f16_e32 v43, v42, v19
	v_fma_f16 v27, v27, v20, -v13
	s_clause 0x1
	global_load_dwordx4 v[17:20], v1, s[8:9] offset:376
	global_load_dword v28, v1, s[8:9] offset:392
	ds_read_u16 v1, v6 offset:7200
	v_add3_u32 v4, 0, v4, v7
	s_waitcnt vmcnt(3)
	v_mul_f16_sdwa v42, v52, v14 dst_sel:DWORD dst_unused:UNUSED_PAD src0_sel:DWORD src1_sel:WORD_1
	s_waitcnt vmcnt(2)
	v_mul_f16_sdwa v15, v29, v23 dst_sel:DWORD dst_unused:UNUSED_PAD src0_sel:DWORD src1_sel:WORD_1
	v_mul_f16_sdwa v16, v30, v23 dst_sel:DWORD dst_unused:UNUSED_PAD src0_sel:DWORD src1_sel:WORD_1
	v_fmac_f16_e32 v15, v30, v23
	ds_read_u16 v30, v6
	s_waitcnt lgkmcnt(1)
	v_mul_f16_sdwa v13, v1, v14 dst_sel:DWORD dst_unused:UNUSED_PAD src0_sel:DWORD src1_sel:WORD_1
	v_fmac_f16_e32 v42, v1, v14
	v_mul_f16_sdwa v1, v35, v21 dst_sel:DWORD dst_unused:UNUSED_PAD src0_sel:DWORD src1_sel:WORD_1
	s_waitcnt vmcnt(0) lgkmcnt(0)
	s_barrier
	v_fma_f16 v52, v52, v14, -v13
	v_mul_f16_sdwa v13, v37, v21 dst_sel:DWORD dst_unused:UNUSED_PAD src0_sel:DWORD src1_sel:WORD_1
	v_mul_f16_sdwa v14, v32, v22 dst_sel:DWORD dst_unused:UNUSED_PAD src0_sel:DWORD src1_sel:WORD_1
	v_fma_f16 v1, v37, v21, -v1
	v_mul_f16_sdwa v37, v40, v19 dst_sel:DWORD dst_unused:UNUSED_PAD src0_sel:DWORD src1_sel:WORD_1
	buffer_gl0_inv
	v_fmac_f16_e32 v13, v35, v21
	v_mul_f16_sdwa v21, v34, v22 dst_sel:DWORD dst_unused:UNUSED_PAD src0_sel:DWORD src1_sel:WORD_1
	v_fma_f16 v34, v34, v22, -v14
	v_mul_f16_sdwa v14, v57, v24 dst_sel:DWORD dst_unused:UNUSED_PAD src0_sel:DWORD src1_sel:WORD_1
	v_mul_f16_sdwa v35, v44, v18 dst_sel:DWORD dst_unused:UNUSED_PAD src0_sel:DWORD src1_sel:WORD_1
	v_fmac_f16_e32 v21, v32, v22
	v_fma_f16 v22, v29, v23, -v16
	v_mul_f16_sdwa v23, v49, v24 dst_sel:DWORD dst_unused:UNUSED_PAD src0_sel:DWORD src1_sel:WORD_1
	v_mul_f16_sdwa v16, v51, v17 dst_sel:DWORD dst_unused:UNUSED_PAD src0_sel:DWORD src1_sel:WORD_1
	v_fma_f16 v29, v49, v24, -v14
	v_mul_f16_sdwa v32, v47, v18 dst_sel:DWORD dst_unused:UNUSED_PAD src0_sel:DWORD src1_sel:WORD_1
	v_mul_f16_sdwa v14, v41, v19 dst_sel:DWORD dst_unused:UNUSED_PAD src0_sel:DWORD src1_sel:WORD_1
	v_fmac_f16_e32 v23, v57, v24
	v_fma_f16 v24, v46, v17, -v16
	v_mul_f16_sdwa v16, v46, v17 dst_sel:DWORD dst_unused:UNUSED_PAD src0_sel:DWORD src1_sel:WORD_1
	v_fmac_f16_e32 v35, v47, v18
	v_fmac_f16_e32 v14, v40, v19
	v_mul_f16_sdwa v40, v53, v28 dst_sel:DWORD dst_unused:UNUSED_PAD src0_sel:DWORD src1_sel:WORD_1
	v_sub_f16_e32 v46, v60, v48
	v_fmac_f16_e32 v16, v51, v17
	v_fma_f16 v17, v44, v18, -v32
	v_fma_f16 v18, v41, v19, -v37
	v_add_f16_e32 v19, v26, v45
	v_mul_f16_sdwa v32, v54, v20 dst_sel:DWORD dst_unused:UNUSED_PAD src0_sel:DWORD src1_sel:WORD_1
	v_mul_f16_sdwa v37, v55, v20 dst_sel:DWORD dst_unused:UNUSED_PAD src0_sel:DWORD src1_sel:WORD_1
	v_add_f16_e32 v41, v12, v36
	v_sub_f16_e32 v44, v58, v61
	v_fma_f16 v19, -0.5, v19, v12
	v_fma_f16 v32, v55, v20, -v32
	v_fmac_f16_e32 v37, v54, v20
	v_fma_f16 v20, v50, v28, -v40
	v_add_f16_e32 v40, v41, v26
	v_add_f16_e32 v51, v36, v27
	v_mul_f16_sdwa v50, v50, v28 dst_sel:DWORD dst_unused:UNUSED_PAD src0_sel:DWORD src1_sel:WORD_1
	v_fmamk_f16 v41, v44, 0x3b9c, v19
	v_sub_f16_e32 v47, v36, v26
	v_sub_f16_e32 v49, v27, v45
	v_add_f16_e32 v40, v40, v45
	v_fmac_f16_e32 v12, -0.5, v51
	v_fmac_f16_e32 v50, v53, v28
	v_fmac_f16_e32 v19, 0xbb9c, v44
	v_add_f16_e32 v53, v30, v58
	v_fmac_f16_e32 v41, 0x38b4, v46
	v_add_f16_e32 v47, v47, v49
	v_add_f16_e32 v28, v40, v27
	v_fmamk_f16 v40, v46, 0xbb9c, v12
	v_sub_f16_e32 v49, v26, v36
	v_sub_f16_e32 v51, v45, v27
	v_fmac_f16_e32 v19, 0xb8b4, v46
	v_add_f16_e32 v54, v60, v48
	v_fmac_f16_e32 v12, 0x3b9c, v46
	v_add_f16_e32 v46, v53, v60
	v_add_f16_e32 v49, v49, v51
	v_sub_f16_e32 v27, v36, v27
	v_fma_f16 v51, -0.5, v54, v30
	v_fmac_f16_e32 v41, 0x34f2, v47
	v_add_f16_e32 v36, v46, v48
	v_add_f16_e32 v46, v58, v61
	v_fmac_f16_e32 v40, 0x38b4, v44
	v_fmac_f16_e32 v19, 0x34f2, v47
	;; [unrolled: 1-line block ×3, first 2 shown]
	v_fmamk_f16 v44, v27, 0xbb9c, v51
	v_sub_f16_e32 v26, v26, v45
	v_sub_f16_e32 v45, v58, v60
	;; [unrolled: 1-line block ×3, first 2 shown]
	v_fmac_f16_e32 v30, -0.5, v46
	v_fmac_f16_e32 v51, 0x3b9c, v27
	v_fmac_f16_e32 v44, 0xb8b4, v26
	v_sub_f16_e32 v48, v48, v61
	v_add_f16_e32 v45, v45, v47
	v_fmamk_f16 v46, v26, 0x3b9c, v30
	v_sub_f16_e32 v47, v60, v58
	v_fmac_f16_e32 v51, 0x38b4, v26
	v_fmac_f16_e32 v30, 0xbb9c, v26
	;; [unrolled: 1-line block ×4, first 2 shown]
	v_add_f16_e32 v47, v47, v48
	v_add_f16_e32 v48, v25, v39
	v_fmac_f16_e32 v51, 0x34f2, v45
	v_fmac_f16_e32 v30, 0x38b4, v27
	v_add_f16_e32 v45, v59, v52
	v_fmac_f16_e32 v40, 0x34f2, v49
	v_fmac_f16_e32 v12, 0x34f2, v49
	v_add_f16_e32 v49, v38, v59
	v_fmac_f16_e32 v46, 0x34f2, v47
	v_fma_f16 v27, -0.5, v48, v38
	v_sub_f16_e32 v48, v33, v42
	v_fmac_f16_e32 v30, 0x34f2, v47
	v_sub_f16_e32 v47, v31, v43
	v_fmac_f16_e32 v38, -0.5, v45
	v_add_f16_e32 v26, v49, v25
	v_fmamk_f16 v45, v48, 0x3b9c, v27
	v_sub_f16_e32 v49, v59, v25
	v_sub_f16_e32 v53, v52, v39
	v_fmac_f16_e32 v27, 0xbb9c, v48
	v_fmamk_f16 v54, v47, 0xbb9c, v38
	v_fmac_f16_e32 v38, 0x3b9c, v47
	v_add_f16_e32 v26, v26, v39
	v_fmac_f16_e32 v45, 0x38b4, v47
	v_add_f16_e32 v49, v49, v53
	v_fmac_f16_e32 v27, 0xb8b4, v47
	v_fmac_f16_e32 v54, 0x38b4, v48
	v_add_f16_e32 v47, v31, v43
	v_fmac_f16_e32 v38, 0xb8b4, v48
	v_add_f16_e32 v48, v33, v42
	v_add_f16_e32 v26, v26, v52
	v_sub_f16_e32 v55, v25, v59
	v_sub_f16_e32 v57, v39, v52
	v_fmac_f16_e32 v45, 0x34f2, v49
	v_fmac_f16_e32 v27, 0x34f2, v49
	v_fma_f16 v47, -0.5, v47, v56
	v_sub_f16_e32 v49, v59, v52
	v_add_f16_e32 v52, v56, v33
	v_sub_f16_e32 v25, v25, v39
	v_fmac_f16_e32 v56, -0.5, v48
	v_add_f16_e32 v53, v55, v57
	v_sub_f16_e32 v48, v33, v31
	v_sub_f16_e32 v33, v31, v33
	;; [unrolled: 1-line block ×3, first 2 shown]
	v_fmamk_f16 v55, v25, 0x3b9c, v56
	v_fmac_f16_e32 v54, 0x34f2, v53
	v_fmac_f16_e32 v38, 0x34f2, v53
	v_fmamk_f16 v39, v49, 0xbb9c, v47
	v_sub_f16_e32 v53, v42, v43
	v_fmac_f16_e32 v56, 0xbb9c, v25
	v_fmac_f16_e32 v55, 0xb8b4, v49
	v_add_f16_e32 v33, v33, v57
	v_fmac_f16_e32 v39, 0xb8b4, v25
	v_add_f16_e32 v48, v48, v53
	;; [unrolled: 2-line block ×3, first 2 shown]
	v_fmac_f16_e32 v55, 0x34f2, v33
	v_fmac_f16_e32 v47, 0x3b9c, v49
	;; [unrolled: 1-line block ×4, first 2 shown]
	v_add_f16_e32 v31, v31, v43
	v_mul_f16_e32 v33, 0x3b9c, v55
	v_fmac_f16_e32 v47, 0x38b4, v25
	v_mul_f16_e32 v25, 0x38b4, v39
	v_mul_f16_e32 v43, 0x34f2, v38
	v_add_f16_e32 v31, v31, v42
	v_fmac_f16_e32 v33, 0x34f2, v54
	v_mul_f16_e32 v54, 0xbb9c, v54
	v_fmac_f16_e32 v47, 0x34f2, v48
	v_fmac_f16_e32 v25, 0x3a79, v45
	v_fma_f16 v42, v56, 0x3b9c, -v43
	v_mul_f16_e32 v43, 0x3a79, v27
	v_add_f16_e32 v52, v40, v33
	v_mul_f16_e32 v45, 0xb8b4, v45
	v_mul_f16_e32 v56, 0x34f2, v56
	v_fmac_f16_e32 v54, 0x34f2, v55
	v_sub_f16_e32 v33, v40, v33
	v_add_f16_e32 v40, v9, v34
	v_add_f16_e32 v36, v36, v61
	v_add_f16_e32 v48, v28, v26
	v_add_f16_e32 v53, v12, v42
	v_fma_f16 v43, v47, 0x38b4, -v43
	v_mul_f16_e32 v47, 0x3a79, v47
	v_fmac_f16_e32 v45, 0x3a79, v39
	v_fma_f16 v38, v38, 0xbb9c, -v56
	v_add_f16_e32 v55, v46, v54
	v_sub_f16_e32 v26, v28, v26
	v_add_f16_e32 v28, v29, v17
	v_sub_f16_e32 v12, v12, v42
	v_sub_f16_e32 v42, v46, v54
	v_add_f16_e32 v40, v40, v29
	v_add_f16_e32 v54, v34, v32
	v_add_f16_e32 v49, v41, v25
	v_fma_f16 v27, v27, 0xb8b4, -v47
	v_add_f16_e32 v39, v36, v31
	v_add_f16_e32 v47, v44, v45
	;; [unrolled: 1-line block ×3, first 2 shown]
	v_sub_f16_e32 v25, v41, v25
	v_fma_f16 v28, -0.5, v28, v9
	v_sub_f16_e32 v41, v21, v37
	v_sub_f16_e32 v31, v36, v31
	;; [unrolled: 1-line block ×7, first 2 shown]
	v_add_f16_e32 v38, v40, v17
	v_fmac_f16_e32 v9, -0.5, v54
	v_add_f16_e32 v57, v19, v43
	v_add_f16_e32 v58, v51, v27
	v_sub_f16_e32 v19, v19, v43
	v_fmamk_f16 v43, v41, 0x3b9c, v28
	v_add_f16_e32 v40, v45, v46
	v_sub_f16_e32 v45, v51, v27
	v_add_f16_e32 v27, v38, v32
	v_fmac_f16_e32 v28, 0xbb9c, v41
	v_fmamk_f16 v38, v44, 0xbb9c, v9
	v_sub_f16_e32 v46, v29, v34
	v_sub_f16_e32 v51, v17, v32
	v_add_f16_e32 v54, v11, v21
	v_add_f16_e32 v59, v23, v35
	v_fmac_f16_e32 v9, 0x3b9c, v44
	v_fmac_f16_e32 v43, 0x38b4, v44
	;; [unrolled: 1-line block ×4, first 2 shown]
	v_add_f16_e32 v46, v46, v51
	v_add_f16_e32 v44, v54, v23
	v_fma_f16 v51, -0.5, v59, v11
	v_sub_f16_e32 v32, v34, v32
	v_fmac_f16_e32 v9, 0xb8b4, v41
	v_add_f16_e32 v41, v21, v37
	v_fmac_f16_e32 v43, 0x34f2, v40
	v_fmac_f16_e32 v28, 0x34f2, v40
	v_add_f16_e32 v34, v44, v35
	v_fmamk_f16 v40, v32, 0xbb9c, v51
	v_sub_f16_e32 v17, v29, v17
	v_sub_f16_e32 v29, v21, v23
	v_sub_f16_e32 v44, v37, v35
	v_fmac_f16_e32 v11, -0.5, v41
	v_fmac_f16_e32 v51, 0x3b9c, v32
	v_fmac_f16_e32 v40, 0xb8b4, v17
	v_sub_f16_e32 v21, v23, v21
	v_add_f16_e32 v29, v29, v44
	v_fmamk_f16 v41, v17, 0x3b9c, v11
	v_sub_f16_e32 v23, v35, v37
	v_fmac_f16_e32 v51, 0x38b4, v17
	v_fmac_f16_e32 v11, 0xbb9c, v17
	;; [unrolled: 1-line block ×4, first 2 shown]
	v_add_f16_e32 v21, v21, v23
	v_add_f16_e32 v23, v24, v18
	v_fmac_f16_e32 v51, 0x34f2, v29
	v_fmac_f16_e32 v11, 0x38b4, v32
	v_add_f16_e32 v29, v22, v20
	v_add_f16_e32 v35, v1, v22
	v_fmac_f16_e32 v41, 0x34f2, v21
	v_fma_f16 v23, -0.5, v23, v1
	v_sub_f16_e32 v32, v15, v50
	v_fmac_f16_e32 v11, 0x34f2, v21
	v_sub_f16_e32 v21, v16, v14
	v_fmac_f16_e32 v1, -0.5, v29
	v_add_f16_e32 v17, v35, v24
	v_fmamk_f16 v29, v32, 0x3b9c, v23
	v_fmac_f16_e32 v23, 0xbb9c, v32
	v_fmac_f16_e32 v38, 0x34f2, v46
	v_fmamk_f16 v44, v21, 0xbb9c, v1
	v_fmac_f16_e32 v1, 0x3b9c, v21
	v_fmac_f16_e32 v9, 0x34f2, v46
	v_add_f16_e32 v34, v34, v37
	v_add_f16_e32 v17, v17, v18
	v_sub_f16_e32 v35, v22, v24
	v_sub_f16_e32 v37, v20, v18
	;; [unrolled: 1-line block ×4, first 2 shown]
	v_fmac_f16_e32 v29, 0x38b4, v21
	v_fmac_f16_e32 v23, 0xb8b4, v21
	;; [unrolled: 1-line block ×3, first 2 shown]
	v_add_f16_e32 v21, v16, v14
	v_fmac_f16_e32 v1, 0xb8b4, v32
	v_add_f16_e32 v32, v15, v50
	v_add_f16_e32 v17, v17, v20
	;; [unrolled: 1-line block ×4, first 2 shown]
	v_fma_f16 v21, -0.5, v21, v13
	v_sub_f16_e32 v20, v22, v20
	v_add_f16_e32 v22, v13, v15
	v_sub_f16_e32 v18, v24, v18
	v_fmac_f16_e32 v13, -0.5, v32
	v_fmac_f16_e32 v29, 0x34f2, v35
	v_fmac_f16_e32 v23, 0x34f2, v35
	;; [unrolled: 1-line block ×4, first 2 shown]
	v_fmamk_f16 v24, v20, 0xbb9c, v21
	v_sub_f16_e32 v32, v15, v16
	v_sub_f16_e32 v35, v50, v14
	v_fmamk_f16 v37, v18, 0x3b9c, v13
	v_sub_f16_e32 v15, v16, v15
	v_sub_f16_e32 v46, v14, v50
	v_fmac_f16_e32 v13, 0xbb9c, v18
	v_fmac_f16_e32 v21, 0x3b9c, v20
	;; [unrolled: 1-line block ×3, first 2 shown]
	v_add_f16_e32 v32, v32, v35
	v_fmac_f16_e32 v37, 0xb8b4, v20
	v_add_f16_e32 v15, v15, v46
	v_fmac_f16_e32 v13, 0x38b4, v20
	v_fmac_f16_e32 v21, 0x38b4, v18
	v_add_f16_e32 v16, v22, v16
	v_fmac_f16_e32 v24, 0x34f2, v32
	v_fmac_f16_e32 v37, 0x34f2, v15
	;; [unrolled: 1-line block ×3, first 2 shown]
	v_mul_f16_e32 v18, 0x34f2, v1
	v_fmac_f16_e32 v21, 0x34f2, v32
	v_mul_f16_e32 v20, 0x3a79, v23
	v_add_f16_e32 v14, v16, v14
	v_mul_f16_e32 v15, 0x38b4, v24
	v_mul_f16_e32 v16, 0x3b9c, v37
	v_fma_f16 v18, v13, 0x3b9c, -v18
	v_fma_f16 v20, v21, 0x38b4, -v20
	v_add_f16_e32 v14, v14, v50
	v_fmac_f16_e32 v15, 0x3a79, v29
	v_fmac_f16_e32 v16, 0x34f2, v44
	v_add_f16_e32 v46, v9, v18
	v_mul_f16_e32 v29, 0xb8b4, v29
	v_mul_f16_e32 v13, 0x34f2, v13
	;; [unrolled: 1-line block ×3, first 2 shown]
	v_add_f16_e32 v50, v28, v20
	v_sub_f16_e32 v9, v9, v18
	v_sub_f16_e32 v18, v28, v20
	v_cndmask_b32_e64 v20, 0, 0x7d0, s0
	v_add_f16_e32 v35, v38, v16
	v_mul_f16_e32 v44, 0xbb9c, v44
	v_fmac_f16_e32 v29, 0x3a79, v24
	v_fma_f16 v1, v1, 0xbb9c, -v13
	v_fma_f16 v13, v23, 0xb8b4, -v21
	v_sub_f16_e32 v16, v38, v16
	v_add3_u32 v38, 0, v20, v10
	v_add_f16_e32 v22, v27, v17
	v_add_f16_e32 v32, v43, v15
	v_sub_f16_e32 v17, v27, v17
	v_sub_f16_e32 v15, v43, v15
	v_fmac_f16_e32 v44, 0x34f2, v37
	v_add_f16_e32 v37, v34, v14
	v_add_f16_e32 v54, v40, v29
	;; [unrolled: 1-line block ×4, first 2 shown]
	v_sub_f16_e32 v28, v34, v14
	v_sub_f16_e32 v29, v40, v29
	;; [unrolled: 1-line block ×4, first 2 shown]
	ds_write_b16 v38, v48
	ds_write_b16 v38, v49 offset:200
	ds_write_b16 v38, v52 offset:400
	;; [unrolled: 1-line block ×9, first 2 shown]
	ds_write_b16 v4, v22
	ds_write_b16 v4, v32 offset:200
	ds_write_b16 v4, v35 offset:400
	;; [unrolled: 1-line block ×9, first 2 shown]
	s_waitcnt lgkmcnt(0)
	s_barrier
	buffer_gl0_inv
	ds_read_u16 v12, v6 offset:6400
	ds_read_u16 v11, v6
	ds_read_u16 v7, v6 offset:400
	ds_read_u16 v8, v6 offset:800
	v_lshl_add_u32 v25, v0, 1, 0
	ds_read_u16 v13, v6 offset:2400
	ds_read_u16 v15, v6 offset:2800
	;; [unrolled: 1-line block ×16, first 2 shown]
	v_add_f16_e32 v59, v41, v44
	v_sub_f16_e32 v34, v41, v44
	s_waitcnt lgkmcnt(0)
	s_barrier
	buffer_gl0_inv
	ds_write_b16 v38, v39
	ds_write_b16 v38, v47 offset:200
	ds_write_b16 v38, v55 offset:400
	;; [unrolled: 1-line block ×9, first 2 shown]
	ds_write_b16 v4, v37
	ds_write_b16 v4, v54 offset:200
	ds_write_b16 v4, v59 offset:400
	;; [unrolled: 1-line block ×9, first 2 shown]
	s_waitcnt lgkmcnt(0)
	s_barrier
	buffer_gl0_inv
	s_and_saveexec_b32 s0, vcc_lo
	s_cbranch_execz .LBB0_13
; %bb.12:
	v_mul_u32_u24_e32 v1, 3, v0
	v_add_nc_u32_e32 v45, 0x320, v0
	v_add_nc_u32_e32 v59, 0x258, v0
	v_lshlrev_b32_e32 v1, 2, v1
	v_add_co_u32 v1, s0, s8, v1
	v_add_co_ci_u32_e64 v4, null, s9, 0, s0
	v_add_co_u32 v28, vcc_lo, 0x800, v1
	v_mul_u32_u24_e32 v1, 3, v45
	v_add_co_ci_u32_e32 v29, vcc_lo, 0, v4, vcc_lo
	v_mad_u32_u24 v4, v45, 3, 0xfffffda8
	v_lshlrev_b32_e32 v1, 2, v1
	global_load_dwordx3 v[28:30], v[28:29], off offset:1912
	v_lshlrev_b64 v[34:35], 2, v[4:5]
	v_add_co_u32 v1, s0, s8, v1
	v_add_co_ci_u32_e64 v32, null, s9, 0, s0
	v_add_co_u32 v31, vcc_lo, 0x800, v1
	v_add_co_ci_u32_e32 v32, vcc_lo, 0, v32, vcc_lo
	v_add_co_u32 v1, vcc_lo, s8, v34
	v_add_co_ci_u32_e32 v4, vcc_lo, s9, v35, vcc_lo
	global_load_dwordx3 v[31:33], v[31:32], off offset:1912
	v_add_co_u32 v34, vcc_lo, 0x800, v1
	v_add_co_ci_u32_e32 v35, vcc_lo, 0, v4, vcc_lo
	v_mad_u32_u24 v4, v45, 3, 0xfffffb50
	global_load_dwordx3 v[34:36], v[34:35], off offset:1912
	v_lshlrev_b64 v[37:38], 2, v[4:5]
	v_add_co_u32 v1, vcc_lo, s8, v37
	v_add_co_ci_u32_e32 v4, vcc_lo, s9, v38, vcc_lo
	v_add_co_u32 v37, vcc_lo, 0x800, v1
	v_add_co_ci_u32_e32 v38, vcc_lo, 0, v4, vcc_lo
	v_mad_u32_u24 v4, v45, 3, 0xfffff8f8
	global_load_dwordx3 v[37:39], v[37:38], off offset:1912
	v_lshlrev_b64 v[40:41], 2, v[4:5]
	v_add_co_u32 v1, vcc_lo, s8, v40
	v_add_co_ci_u32_e32 v4, vcc_lo, s9, v41, vcc_lo
	v_add_co_u32 v40, vcc_lo, 0x800, v1
	v_add_co_ci_u32_e32 v41, vcc_lo, 0, v4, vcc_lo
	v_mov_b32_e32 v1, v5
	v_add_co_u32 v57, vcc_lo, s2, v2
	global_load_dwordx3 v[40:42], v[40:41], off offset:1912
	ds_read_u16 v46, v6 offset:3600
	ds_read_u16 v47, v6 offset:4000
	;; [unrolled: 1-line block ×11, first 2 shown]
	v_lshlrev_b64 v[43:44], 2, v[0:1]
	v_add_nc_u32_e32 v4, 0x190, v0
	v_add_co_ci_u32_e32 v58, vcc_lo, s3, v3, vcc_lo
	v_add_co_u32 v0, vcc_lo, v57, v43
	v_mul_hi_u32 v4, 0x10624dd3, v4
	v_add_co_ci_u32_e32 v1, vcc_lo, v58, v44, vcc_lo
	v_mul_hi_u32 v43, 0x10624dd3, v59
	v_lshrrev_b32_e32 v2, 6, v4
	v_mul_u32_u24_e32 v4, 0xbb8, v2
	s_waitcnt vmcnt(4) lgkmcnt(9)
	v_mul_f16_sdwa v3, v47, v29 dst_sel:DWORD dst_unused:UNUSED_PAD src0_sel:DWORD src1_sel:WORD_1
	v_mul_f16_sdwa v44, v27, v29 dst_sel:DWORD dst_unused:UNUSED_PAD src0_sel:DWORD src1_sel:WORD_1
	;; [unrolled: 1-line block ×4, first 2 shown]
	s_waitcnt lgkmcnt(0)
	v_mul_f16_sdwa v2, v56, v28 dst_sel:DWORD dst_unused:UNUSED_PAD src0_sel:DWORD src1_sel:WORD_1
	v_fma_f16 v27, v27, v29, -v3
	v_fmac_f16_e32 v44, v29, v47
	ds_read_u16 v29, v6 offset:7600
	ds_read_u16 v47, v25 offset:1200
	v_mul_f16_sdwa v3, v48, v30 dst_sel:DWORD dst_unused:UNUSED_PAD src0_sel:DWORD src1_sel:WORD_1
	v_fmac_f16_e32 v61, v48, v30
	v_lshrrev_b32_e32 v25, 6, v43
	v_fmac_f16_e32 v60, v56, v28
	v_fma_f16 v26, v26, v28, -v2
	v_fma_f16 v24, v24, v30, -v3
	v_lshlrev_b64 v[2:3], 2, v[4:5]
	v_mad_u32_u24 v4, 0xbb8, v25, v59
	s_waitcnt vmcnt(3)
	v_mul_f16_sdwa v30, v49, v32 dst_sel:DWORD dst_unused:UNUSED_PAD src0_sel:DWORD src1_sel:WORD_1
	v_mul_f16_sdwa v56, v23, v32 dst_sel:DWORD dst_unused:UNUSED_PAD src0_sel:DWORD src1_sel:WORD_1
	;; [unrolled: 1-line block ×3, first 2 shown]
	v_mul_hi_u32 v28, 0x10624dd3, v45
	v_mul_f16_sdwa v25, v46, v31 dst_sel:DWORD dst_unused:UNUSED_PAD src0_sel:DWORD src1_sel:WORD_1
	v_fma_f16 v59, v23, v32, -v30
	ds_read_u16 v23, v6 offset:7200
	v_mul_f16_sdwa v43, v21, v31 dst_sel:DWORD dst_unused:UNUSED_PAD src0_sel:DWORD src1_sel:WORD_1
	v_fmac_f16_e32 v56, v32, v49
	ds_read_u16 v30, v6 offset:6400
	s_waitcnt lgkmcnt(3)
	v_fmac_f16_e32 v48, v29, v33
	v_mul_f16_sdwa v29, v29, v33 dst_sel:DWORD dst_unused:UNUSED_PAD src0_sel:DWORD src1_sel:WORD_1
	v_lshrrev_b32_e32 v28, 6, v28
	v_fma_f16 v32, v21, v31, -v25
	ds_read_u16 v25, v6 offset:6800
	s_waitcnt vmcnt(2)
	v_mul_f16_sdwa v49, v20, v35 dst_sel:DWORD dst_unused:UNUSED_PAD src0_sel:DWORD src1_sel:WORD_1
	v_fma_f16 v33, v22, v33, -v29
	v_mul_f16_sdwa v29, v50, v35 dst_sel:DWORD dst_unused:UNUSED_PAD src0_sel:DWORD src1_sel:WORD_1
	v_lshlrev_b64 v[21:22], 2, v[4:5]
	v_mad_u32_u24 v4, 0xbb8, v28, v45
	v_mul_f16_sdwa v45, v18, v34 dst_sel:DWORD dst_unused:UNUSED_PAD src0_sel:DWORD src1_sel:WORD_1
	v_fmac_f16_e32 v43, v46, v31
	v_fma_f16 v62, v20, v35, -v29
	v_mul_f16_sdwa v20, v53, v34 dst_sel:DWORD dst_unused:UNUSED_PAD src0_sel:DWORD src1_sel:WORD_1
	v_mul_f16_sdwa v46, v19, v36 dst_sel:DWORD dst_unused:UNUSED_PAD src0_sel:DWORD src1_sel:WORD_1
	v_fmac_f16_e32 v45, v53, v34
	s_waitcnt lgkmcnt(2)
	v_mul_f16_sdwa v28, v23, v36 dst_sel:DWORD dst_unused:UNUSED_PAD src0_sel:DWORD src1_sel:WORD_1
	v_fmac_f16_e32 v49, v35, v50
	v_fma_f16 v34, v18, v34, -v20
	ds_read_u16 v35, v6 offset:1600
	ds_read_u16 v50, v6 offset:800
	ds_read_u16 v53, v6 offset:400
	ds_read_u16 v6, v6
	v_add_co_u32 v18, vcc_lo, 0x800, v0
	v_fmac_f16_e32 v46, v23, v36
	v_fma_f16 v36, v19, v36, -v28
	v_add_co_ci_u32_e32 v19, vcc_lo, 0, v1, vcc_lo
	v_lshlrev_b64 v[4:5], 2, v[4:5]
	v_add_co_u32 v20, vcc_lo, v57, v21
	v_add_co_ci_u32_e32 v21, vcc_lo, v58, v22, vcc_lo
	s_waitcnt vmcnt(1)
	v_mul_f16_sdwa v22, v51, v38 dst_sel:DWORD dst_unused:UNUSED_PAD src0_sel:DWORD src1_sel:WORD_1
	v_add_co_u32 v4, vcc_lo, v57, v4
	v_add_co_ci_u32_e32 v5, vcc_lo, v58, v5, vcc_lo
	v_mul_f16_sdwa v57, v15, v37 dst_sel:DWORD dst_unused:UNUSED_PAD src0_sel:DWORD src1_sel:WORD_1
	v_mul_f16_sdwa v58, v16, v39 dst_sel:DWORD dst_unused:UNUSED_PAD src0_sel:DWORD src1_sel:WORD_1
	;; [unrolled: 1-line block ×3, first 2 shown]
	v_fma_f16 v64, v17, v38, -v22
	v_mul_f16_sdwa v17, v54, v37 dst_sel:DWORD dst_unused:UNUSED_PAD src0_sel:DWORD src1_sel:WORD_1
	v_fmac_f16_e32 v57, v54, v37
	s_waitcnt lgkmcnt(4)
	v_mul_f16_sdwa v28, v25, v39 dst_sel:DWORD dst_unused:UNUSED_PAD src0_sel:DWORD src1_sel:WORD_1
	v_fmac_f16_e32 v58, v25, v39
	s_waitcnt vmcnt(0)
	v_mul_f16_sdwa v54, v14, v41 dst_sel:DWORD dst_unused:UNUSED_PAD src0_sel:DWORD src1_sel:WORD_1
	v_fma_f16 v37, v15, v37, -v17
	v_mul_f16_sdwa v15, v52, v41 dst_sel:DWORD dst_unused:UNUSED_PAD src0_sel:DWORD src1_sel:WORD_1
	v_mul_f16_sdwa v25, v30, v42 dst_sel:DWORD dst_unused:UNUSED_PAD src0_sel:DWORD src1_sel:WORD_1
	v_fmac_f16_e32 v63, v38, v51
	v_fma_f16 v38, v16, v39, -v28
	v_mul_f16_sdwa v51, v12, v42 dst_sel:DWORD dst_unused:UNUSED_PAD src0_sel:DWORD src1_sel:WORD_1
	v_fma_f16 v65, v14, v41, -v15
	v_fmac_f16_e32 v54, v41, v52
	v_fma_f16 v41, v12, v42, -v25
	v_sub_f16_e32 v25, v11, v27
	v_sub_f16_e32 v27, v60, v61
	s_waitcnt lgkmcnt(0)
	v_sub_f16_e32 v28, v6, v44
	v_sub_f16_e32 v24, v26, v24
	v_fmac_f16_e32 v51, v30, v42
	v_fma_f16 v11, v11, 2.0, -v25
	v_sub_f16_e32 v29, v25, v27
	v_fma_f16 v6, v6, 2.0, -v28
	v_add_f16_e32 v30, v28, v24
	v_fma_f16 v31, v26, 2.0, -v24
	v_fma_f16 v42, v60, 2.0, -v27
	v_mul_f16_sdwa v39, v13, v40 dst_sel:DWORD dst_unused:UNUSED_PAD src0_sel:DWORD src1_sel:WORD_1
	v_sub_f16_e32 v44, v43, v48
	v_fma_f16 v27, v28, 2.0, -v30
	v_pack_b32_f16 v28, v29, v30
	v_sub_f16_e32 v30, v11, v31
	v_sub_f16_e32 v31, v6, v42
	;; [unrolled: 1-line block ×5, first 2 shown]
	v_add_co_u32 v22, vcc_lo, 0x1800, v0
	v_mul_f16_sdwa v16, v55, v40 dst_sel:DWORD dst_unused:UNUSED_PAD src0_sel:DWORD src1_sel:WORD_1
	v_add_co_ci_u32_e32 v23, vcc_lo, 0, v1, vcc_lo
	v_add_co_u32 v14, vcc_lo, 0x2800, v0
	v_fmac_f16_e32 v39, v55, v40
	v_sub_f16_e32 v52, v9, v62
	v_sub_f16_e32 v46, v45, v46
	;; [unrolled: 1-line block ×3, first 2 shown]
	v_fma_f16 v43, v43, 2.0, -v44
	v_sub_f16_e32 v44, v42, v44
	v_fma_f16 v55, v32, 2.0, -v33
	v_add_f16_e32 v32, v48, v33
	v_add_co_ci_u32_e32 v15, vcc_lo, 0, v1, vcc_lo
	v_fma_f16 v40, v13, v40, -v16
	v_add_co_u32 v16, vcc_lo, 0x1000, v0
	v_add_co_ci_u32_e32 v17, vcc_lo, 0, v1, vcc_lo
	v_add_co_u32 v12, vcc_lo, 0x2000, v0
	v_fma_f16 v11, v11, 2.0, -v30
	v_fma_f16 v6, v6, 2.0, -v31
	;; [unrolled: 1-line block ×4, first 2 shown]
	v_sub_f16_e32 v10, v52, v46
	v_fma_f16 v46, v34, 2.0, -v36
	v_fma_f16 v34, v42, 2.0, -v44
	;; [unrolled: 1-line block ×3, first 2 shown]
	v_add_co_ci_u32_e32 v13, vcc_lo, 0, v1, vcc_lo
	v_add_co_u32 v2, vcc_lo, v0, v2
	v_fma_f16 v26, v25, 2.0, -v29
	v_add_co_ci_u32_e32 v3, vcc_lo, v1, v3, vcc_lo
	v_sub_f16_e32 v49, v47, v49
	v_fma_f16 v35, v35, 2.0, -v48
	v_pack_b32_f16 v6, v11, v6
	v_pack_b32_f16 v11, v34, v42
	v_sub_f16_e32 v34, v8, v64
	v_sub_f16_e32 v42, v57, v58
	;; [unrolled: 1-line block ×4, first 2 shown]
	v_add_co_u32 v24, vcc_lo, 0x3000, v0
	v_add_co_ci_u32_e32 v25, vcc_lo, 0, v1, vcc_lo
	v_pack_b32_f16 v29, v26, v27
	v_add_co_u32 v26, vcc_lo, 0x1000, v2
	v_add_f16_e32 v33, v49, v36
	v_fma_f16 v36, v9, 2.0, -v52
	v_sub_f16_e32 v55, v56, v55
	v_sub_f16_e32 v43, v35, v43
	v_fma_f16 v57, v57, 2.0, -v42
	v_sub_f16_e32 v42, v34, v42
	v_fma_f16 v37, v37, 2.0, -v38
	v_add_f16_e32 v38, v58, v38
	v_add_co_ci_u32_e32 v27, vcc_lo, 0, v3, vcc_lo
	global_store_dword v[14:15], v28, off offset:1760
	v_add_co_u32 v14, vcc_lo, 0x2000, v2
	v_pack_b32_f16 v28, v30, v31
	v_add_co_ci_u32_e32 v15, vcc_lo, 0, v3, vcc_lo
	global_store_dword v[18:19], v29, off offset:1952
	v_add_co_u32 v18, vcc_lo, 0x3000, v2
	v_fma_f16 v47, v47, 2.0, -v49
	v_fma_f16 v50, v50, 2.0, -v58
	v_fma_f16 v56, v56, 2.0, -v55
	v_fma_f16 v59, v35, 2.0, -v43
	v_pack_b32_f16 v43, v55, v43
	v_fma_f16 v55, v34, 2.0, -v42
	v_fma_f16 v58, v58, 2.0, -v38
	v_pack_b32_f16 v38, v42, v38
	v_sub_f16_e32 v42, v36, v46
	v_sub_f16_e32 v46, v7, v65
	;; [unrolled: 1-line block ×5, first 2 shown]
	v_add_co_ci_u32_e32 v19, vcc_lo, 0, v3, vcc_lo
	v_fma_f16 v8, v8, 2.0, -v34
	global_store_dword v[22:23], v28, off offset:1856
	v_add_co_u32 v22, vcc_lo, 0x800, v20
	v_add_co_ci_u32_e32 v23, vcc_lo, 0, v21, vcc_lo
	v_fma_f16 v48, v52, 2.0, -v10
	v_fma_f16 v49, v49, 2.0, -v33
	v_sub_f16_e32 v45, v47, v45
	v_fma_f16 v39, v39, 2.0, -v51
	v_sub_f16_e32 v51, v46, v51
	v_fma_f16 v40, v40, 2.0, -v41
	v_add_f16_e32 v41, v54, v41
	v_fma_f16 v7, v7, 2.0, -v46
	v_fma_f16 v53, v53, 2.0, -v54
	v_add_co_u32 v28, vcc_lo, 0x1800, v20
	v_sub_f16_e32 v37, v8, v37
	v_sub_f16_e32 v57, v50, v57
	v_add_co_ci_u32_e32 v29, vcc_lo, 0, v21, vcc_lo
	v_add_co_u32 v30, vcc_lo, 0x2800, v20
	v_fma_f16 v36, v36, 2.0, -v42
	v_fma_f16 v47, v47, 2.0, -v45
	v_pack_b32_f16 v48, v48, v49
	v_fma_f16 v46, v46, 2.0, -v51
	v_fma_f16 v49, v54, 2.0, -v41
	v_sub_f16_e32 v40, v7, v40
	v_sub_f16_e32 v39, v53, v39
	v_add_co_ci_u32_e32 v31, vcc_lo, 0, v21, vcc_lo
	v_add_co_u32 v9, vcc_lo, 0x800, v4
	v_pack_b32_f16 v42, v42, v45
	v_fma_f16 v8, v8, 2.0, -v37
	v_fma_f16 v45, v50, 2.0, -v57
	v_pack_b32_f16 v52, v10, v33
	v_add_co_ci_u32_e32 v10, vcc_lo, 0, v5, vcc_lo
	v_pack_b32_f16 v44, v44, v32
	v_add_co_u32 v32, vcc_lo, 0x1800, v4
	v_pack_b32_f16 v41, v51, v41
	v_pack_b32_f16 v37, v37, v57
	global_store_dword v[18:19], v38, off offset:1312
	v_pack_b32_f16 v18, v36, v47
	v_fma_f16 v7, v7, 2.0, -v40
	v_fma_f16 v19, v53, 2.0, -v39
	v_pack_b32_f16 v36, v46, v49
	v_pack_b32_f16 v38, v40, v39
	v_add_co_ci_u32_e32 v33, vcc_lo, 0, v5, vcc_lo
	v_pack_b32_f16 v8, v8, v45
	v_add_co_u32 v34, vcc_lo, 0x2800, v4
	v_pack_b32_f16 v50, v55, v58
	v_add_co_ci_u32_e32 v35, vcc_lo, 0, v5, vcc_lo
	global_store_dword v[0:1], v6, off
	v_pack_b32_f16 v6, v56, v59
	global_store_dword v[24:25], v41, off offset:512
	global_store_dword v[14:15], v37, off offset:1408
	v_pack_b32_f16 v7, v7, v19
	global_store_dword v[16:17], v36, off offset:704
	global_store_dword v[12:13], v38, off offset:608
	;; [unrolled: 1-line block ×8, first 2 shown]
	global_store_dword v[20:21], v18, off
	global_store_dword v[4:5], v6, off
	global_store_dword v[9:10], v11, off offset:1952
	global_store_dword v[32:33], v43, off offset:1856
	global_store_dword v[34:35], v44, off offset:1760
.LBB0_13:
	s_endpgm
	.section	.rodata,"a",@progbits
	.p2align	6, 0x0
	.amdhsa_kernel fft_rtc_fwd_len4000_factors_10_10_10_4_wgs_200_tpt_200_halfLds_half_ip_CI_unitstride_sbrr_dirReg
		.amdhsa_group_segment_fixed_size 0
		.amdhsa_private_segment_fixed_size 0
		.amdhsa_kernarg_size 88
		.amdhsa_user_sgpr_count 6
		.amdhsa_user_sgpr_private_segment_buffer 1
		.amdhsa_user_sgpr_dispatch_ptr 0
		.amdhsa_user_sgpr_queue_ptr 0
		.amdhsa_user_sgpr_kernarg_segment_ptr 1
		.amdhsa_user_sgpr_dispatch_id 0
		.amdhsa_user_sgpr_flat_scratch_init 0
		.amdhsa_user_sgpr_private_segment_size 0
		.amdhsa_wavefront_size32 1
		.amdhsa_uses_dynamic_stack 0
		.amdhsa_system_sgpr_private_segment_wavefront_offset 0
		.amdhsa_system_sgpr_workgroup_id_x 1
		.amdhsa_system_sgpr_workgroup_id_y 0
		.amdhsa_system_sgpr_workgroup_id_z 0
		.amdhsa_system_sgpr_workgroup_info 0
		.amdhsa_system_vgpr_workitem_id 0
		.amdhsa_next_free_vgpr 66
		.amdhsa_next_free_sgpr 21
		.amdhsa_reserve_vcc 1
		.amdhsa_reserve_flat_scratch 0
		.amdhsa_float_round_mode_32 0
		.amdhsa_float_round_mode_16_64 0
		.amdhsa_float_denorm_mode_32 3
		.amdhsa_float_denorm_mode_16_64 3
		.amdhsa_dx10_clamp 1
		.amdhsa_ieee_mode 1
		.amdhsa_fp16_overflow 0
		.amdhsa_workgroup_processor_mode 1
		.amdhsa_memory_ordered 1
		.amdhsa_forward_progress 0
		.amdhsa_shared_vgpr_count 0
		.amdhsa_exception_fp_ieee_invalid_op 0
		.amdhsa_exception_fp_denorm_src 0
		.amdhsa_exception_fp_ieee_div_zero 0
		.amdhsa_exception_fp_ieee_overflow 0
		.amdhsa_exception_fp_ieee_underflow 0
		.amdhsa_exception_fp_ieee_inexact 0
		.amdhsa_exception_int_div_zero 0
	.end_amdhsa_kernel
	.text
.Lfunc_end0:
	.size	fft_rtc_fwd_len4000_factors_10_10_10_4_wgs_200_tpt_200_halfLds_half_ip_CI_unitstride_sbrr_dirReg, .Lfunc_end0-fft_rtc_fwd_len4000_factors_10_10_10_4_wgs_200_tpt_200_halfLds_half_ip_CI_unitstride_sbrr_dirReg
                                        ; -- End function
	.section	.AMDGPU.csdata,"",@progbits
; Kernel info:
; codeLenInByte = 12580
; NumSgprs: 23
; NumVgprs: 66
; ScratchSize: 0
; MemoryBound: 0
; FloatMode: 240
; IeeeMode: 1
; LDSByteSize: 0 bytes/workgroup (compile time only)
; SGPRBlocks: 2
; VGPRBlocks: 8
; NumSGPRsForWavesPerEU: 23
; NumVGPRsForWavesPerEU: 66
; Occupancy: 12
; WaveLimiterHint : 1
; COMPUTE_PGM_RSRC2:SCRATCH_EN: 0
; COMPUTE_PGM_RSRC2:USER_SGPR: 6
; COMPUTE_PGM_RSRC2:TRAP_HANDLER: 0
; COMPUTE_PGM_RSRC2:TGID_X_EN: 1
; COMPUTE_PGM_RSRC2:TGID_Y_EN: 0
; COMPUTE_PGM_RSRC2:TGID_Z_EN: 0
; COMPUTE_PGM_RSRC2:TIDIG_COMP_CNT: 0
	.text
	.p2alignl 6, 3214868480
	.fill 48, 4, 3214868480
	.type	__hip_cuid_e1687abc524f43bd,@object ; @__hip_cuid_e1687abc524f43bd
	.section	.bss,"aw",@nobits
	.globl	__hip_cuid_e1687abc524f43bd
__hip_cuid_e1687abc524f43bd:
	.byte	0                               ; 0x0
	.size	__hip_cuid_e1687abc524f43bd, 1

	.ident	"AMD clang version 19.0.0git (https://github.com/RadeonOpenCompute/llvm-project roc-6.4.0 25133 c7fe45cf4b819c5991fe208aaa96edf142730f1d)"
	.section	".note.GNU-stack","",@progbits
	.addrsig
	.addrsig_sym __hip_cuid_e1687abc524f43bd
	.amdgpu_metadata
---
amdhsa.kernels:
  - .args:
      - .actual_access:  read_only
        .address_space:  global
        .offset:         0
        .size:           8
        .value_kind:     global_buffer
      - .offset:         8
        .size:           8
        .value_kind:     by_value
      - .actual_access:  read_only
        .address_space:  global
        .offset:         16
        .size:           8
        .value_kind:     global_buffer
      - .actual_access:  read_only
        .address_space:  global
        .offset:         24
        .size:           8
        .value_kind:     global_buffer
      - .offset:         32
        .size:           8
        .value_kind:     by_value
      - .actual_access:  read_only
        .address_space:  global
        .offset:         40
        .size:           8
        .value_kind:     global_buffer
      - .actual_access:  read_only
        .address_space:  global
        .offset:         48
        .size:           8
        .value_kind:     global_buffer
      - .offset:         56
        .size:           4
        .value_kind:     by_value
      - .actual_access:  read_only
        .address_space:  global
        .offset:         64
        .size:           8
        .value_kind:     global_buffer
      - .actual_access:  read_only
        .address_space:  global
        .offset:         72
        .size:           8
        .value_kind:     global_buffer
      - .address_space:  global
        .offset:         80
        .size:           8
        .value_kind:     global_buffer
    .group_segment_fixed_size: 0
    .kernarg_segment_align: 8
    .kernarg_segment_size: 88
    .language:       OpenCL C
    .language_version:
      - 2
      - 0
    .max_flat_workgroup_size: 200
    .name:           fft_rtc_fwd_len4000_factors_10_10_10_4_wgs_200_tpt_200_halfLds_half_ip_CI_unitstride_sbrr_dirReg
    .private_segment_fixed_size: 0
    .sgpr_count:     23
    .sgpr_spill_count: 0
    .symbol:         fft_rtc_fwd_len4000_factors_10_10_10_4_wgs_200_tpt_200_halfLds_half_ip_CI_unitstride_sbrr_dirReg.kd
    .uniform_work_group_size: 1
    .uses_dynamic_stack: false
    .vgpr_count:     66
    .vgpr_spill_count: 0
    .wavefront_size: 32
    .workgroup_processor_mode: 1
amdhsa.target:   amdgcn-amd-amdhsa--gfx1030
amdhsa.version:
  - 1
  - 2
...

	.end_amdgpu_metadata
